;; amdgpu-corpus repo=ROCm/rocFFT kind=compiled arch=gfx906 opt=O3
	.text
	.amdgcn_target "amdgcn-amd-amdhsa--gfx906"
	.amdhsa_code_object_version 6
	.protected	bluestein_single_fwd_len1560_dim1_sp_op_CI_CI ; -- Begin function bluestein_single_fwd_len1560_dim1_sp_op_CI_CI
	.globl	bluestein_single_fwd_len1560_dim1_sp_op_CI_CI
	.p2align	8
	.type	bluestein_single_fwd_len1560_dim1_sp_op_CI_CI,@function
bluestein_single_fwd_len1560_dim1_sp_op_CI_CI: ; @bluestein_single_fwd_len1560_dim1_sp_op_CI_CI
; %bb.0:
	s_load_dwordx4 s[0:3], s[4:5], 0x28
	v_mul_u32_u24_e32 v1, 0x1a5, v0
	v_add_u32_sdwa v56, s6, v1 dst_sel:DWORD dst_unused:UNUSED_PAD src0_sel:DWORD src1_sel:WORD_1
	v_mov_b32_e32 v57, 0
	s_waitcnt lgkmcnt(0)
	v_cmp_gt_u64_e32 vcc, s[0:1], v[56:57]
	s_and_saveexec_b64 s[0:1], vcc
	s_cbranch_execz .LBB0_23
; %bb.1:
	s_load_dwordx2 s[14:15], s[4:5], 0x0
	s_load_dwordx2 s[12:13], s[4:5], 0x38
	s_movk_i32 s0, 0x9c
	v_mul_lo_u16_sdwa v1, v1, s0 dst_sel:DWORD dst_unused:UNUSED_PAD src0_sel:WORD_1 src1_sel:DWORD
	v_sub_u16_e32 v86, v0, v1
	s_movk_i32 s0, 0x78
	v_cmp_gt_u16_e64 s[0:1], s0, v86
	v_lshlrev_b32_e32 v85, 3, v86
	s_and_saveexec_b64 s[6:7], s[0:1]
	s_cbranch_execz .LBB0_3
; %bb.2:
	s_load_dwordx2 s[8:9], s[4:5], 0x18
	s_waitcnt lgkmcnt(0)
	s_load_dwordx4 s[8:11], s[8:9], 0x0
	s_waitcnt lgkmcnt(0)
	v_mad_u64_u32 v[0:1], s[16:17], s10, v56, 0
	v_mad_u64_u32 v[2:3], s[16:17], s8, v86, 0
	;; [unrolled: 1-line block ×4, first 2 shown]
	v_mov_b32_e32 v1, v4
	v_lshlrev_b64 v[0:1], 3, v[0:1]
	v_mov_b32_e32 v3, v5
	v_mov_b32_e32 v6, s3
	v_lshlrev_b64 v[2:3], 3, v[2:3]
	v_add_co_u32_e32 v0, vcc, s2, v0
	v_addc_co_u32_e32 v1, vcc, v6, v1, vcc
	v_add_co_u32_e32 v0, vcc, v0, v2
	v_addc_co_u32_e32 v1, vcc, v1, v3, vcc
	v_mov_b32_e32 v2, s15
	v_add_co_u32_e32 v40, vcc, s14, v85
	s_mul_i32 s2, s9, 0x3c0
	s_mul_hi_u32 s3, s8, 0x3c0
	v_addc_co_u32_e32 v41, vcc, 0, v2, vcc
	s_add_i32 s2, s3, s2
	s_mul_i32 s3, s8, 0x3c0
	v_mov_b32_e32 v3, s2
	v_add_co_u32_e32 v2, vcc, s3, v0
	v_addc_co_u32_e32 v3, vcc, v1, v3, vcc
	v_mov_b32_e32 v5, s2
	v_add_co_u32_e32 v4, vcc, s3, v2
	v_addc_co_u32_e32 v5, vcc, v3, v5, vcc
	v_mov_b32_e32 v7, s2
	v_add_co_u32_e32 v6, vcc, s3, v4
	v_addc_co_u32_e32 v7, vcc, v5, v7, vcc
	global_load_dwordx2 v[8:9], v[0:1], off
	global_load_dwordx2 v[10:11], v[2:3], off
	;; [unrolled: 1-line block ×4, first 2 shown]
	global_load_dwordx2 v[16:17], v85, s[14:15]
	global_load_dwordx2 v[18:19], v85, s[14:15] offset:960
	global_load_dwordx2 v[20:21], v85, s[14:15] offset:1920
	;; [unrolled: 1-line block ×3, first 2 shown]
	v_mov_b32_e32 v1, s2
	v_add_co_u32_e32 v0, vcc, s3, v6
	v_addc_co_u32_e32 v1, vcc, v7, v1, vcc
	global_load_dwordx2 v[2:3], v[0:1], off
	global_load_dwordx2 v[4:5], v85, s[14:15] offset:3840
	v_mov_b32_e32 v6, s2
	v_add_co_u32_e32 v0, vcc, s3, v0
	v_addc_co_u32_e32 v1, vcc, v1, v6, vcc
	s_movk_i32 s8, 0x1000
	v_add_co_u32_e32 v24, vcc, s8, v40
	v_addc_co_u32_e32 v25, vcc, 0, v41, vcc
	global_load_dwordx2 v[6:7], v[0:1], off
	v_mov_b32_e32 v26, s2
	v_add_co_u32_e32 v0, vcc, s3, v0
	v_addc_co_u32_e32 v1, vcc, v1, v26, vcc
	global_load_dwordx2 v[26:27], v[0:1], off
	v_mov_b32_e32 v28, s2
	;; [unrolled: 4-line block ×3, first 2 shown]
	v_add_co_u32_e32 v0, vcc, s3, v0
	v_addc_co_u32_e32 v1, vcc, v1, v30, vcc
	global_load_dwordx2 v[30:31], v[0:1], off
	global_load_dwordx2 v[32:33], v[24:25], off offset:704
	global_load_dwordx2 v[34:35], v[24:25], off offset:1664
	;; [unrolled: 1-line block ×4, first 2 shown]
	v_mov_b32_e32 v24, s2
	v_add_co_u32_e32 v0, vcc, s3, v0
	v_addc_co_u32_e32 v1, vcc, v1, v24, vcc
	s_movk_i32 s8, 0x2000
	v_add_co_u32_e32 v40, vcc, s8, v40
	v_addc_co_u32_e32 v41, vcc, 0, v41, vcc
	global_load_dwordx2 v[24:25], v[0:1], off
	v_mov_b32_e32 v42, s2
	v_add_co_u32_e32 v0, vcc, s3, v0
	v_addc_co_u32_e32 v1, vcc, v1, v42, vcc
	global_load_dwordx2 v[42:43], v[40:41], off offset:448
	global_load_dwordx2 v[44:45], v[0:1], off
	global_load_dwordx2 v[46:47], v[40:41], off offset:1408
	v_mov_b32_e32 v48, s2
	v_add_co_u32_e32 v0, vcc, s3, v0
	v_addc_co_u32_e32 v1, vcc, v1, v48, vcc
	global_load_dwordx2 v[48:49], v[0:1], off
	global_load_dwordx2 v[50:51], v[40:41], off offset:2368
	v_mov_b32_e32 v52, s2
	v_add_co_u32_e32 v0, vcc, s3, v0
	v_addc_co_u32_e32 v1, vcc, v1, v52, vcc
	global_load_dwordx2 v[52:53], v[0:1], off
	global_load_dwordx2 v[54:55], v[40:41], off offset:3328
	s_waitcnt vmcnt(21)
	v_mul_f32_e32 v0, v9, v17
	v_mul_f32_e32 v1, v8, v17
	v_fmac_f32_e32 v0, v8, v16
	v_fma_f32 v1, v9, v16, -v1
	s_waitcnt vmcnt(20)
	v_mul_f32_e32 v8, v11, v19
	v_mul_f32_e32 v9, v10, v19
	v_fmac_f32_e32 v8, v10, v18
	v_fma_f32 v9, v11, v18, -v9
	ds_write2_b64 v85, v[0:1], v[8:9] offset1:120
	s_waitcnt vmcnt(19)
	v_mul_f32_e32 v0, v13, v21
	v_mul_f32_e32 v1, v12, v21
	s_waitcnt vmcnt(18)
	v_mul_f32_e32 v8, v15, v23
	v_mul_f32_e32 v9, v14, v23
	v_fmac_f32_e32 v0, v12, v20
	v_fma_f32 v1, v13, v20, -v1
	v_fmac_f32_e32 v8, v14, v22
	v_fma_f32 v9, v15, v22, -v9
	v_add_u32_e32 v10, 0x400, v85
	ds_write2_b64 v10, v[0:1], v[8:9] offset0:112 offset1:232
	s_waitcnt vmcnt(16)
	v_mul_f32_e32 v0, v3, v5
	v_mul_f32_e32 v1, v2, v5
	v_fmac_f32_e32 v0, v2, v4
	v_fma_f32 v1, v3, v4, -v1
	v_add_u32_e32 v4, 0xc00, v85
	s_waitcnt vmcnt(11)
	v_mul_f32_e32 v2, v7, v33
	v_mul_f32_e32 v3, v6, v33
	v_fmac_f32_e32 v2, v6, v32
	v_fma_f32 v3, v7, v32, -v3
	ds_write2_b64 v4, v[0:1], v[2:3] offset0:96 offset1:216
	s_waitcnt vmcnt(10)
	v_mul_f32_e32 v0, v27, v35
	v_mul_f32_e32 v1, v26, v35
	s_waitcnt vmcnt(9)
	v_mul_f32_e32 v2, v29, v37
	v_mul_f32_e32 v3, v28, v37
	v_fmac_f32_e32 v0, v26, v34
	v_fma_f32 v1, v27, v34, -v1
	v_fmac_f32_e32 v2, v28, v36
	v_fma_f32 v3, v29, v36, -v3
	v_add_u32_e32 v4, 0x1400, v85
	ds_write2_b64 v4, v[0:1], v[2:3] offset0:80 offset1:200
	s_waitcnt vmcnt(8)
	v_mul_f32_e32 v0, v31, v39
	v_mul_f32_e32 v1, v30, v39
	v_fmac_f32_e32 v0, v30, v38
	s_waitcnt vmcnt(6)
	v_mul_f32_e32 v2, v25, v43
	v_mul_f32_e32 v3, v24, v43
	v_fma_f32 v1, v31, v38, -v1
	v_fmac_f32_e32 v2, v24, v42
	v_fma_f32 v3, v25, v42, -v3
	v_add_u32_e32 v4, 0x1c00, v85
	ds_write2_b64 v4, v[0:1], v[2:3] offset0:64 offset1:184
	s_waitcnt vmcnt(4)
	v_mul_f32_e32 v0, v45, v47
	v_mul_f32_e32 v1, v44, v47
	s_waitcnt vmcnt(2)
	v_mul_f32_e32 v2, v49, v51
	v_mul_f32_e32 v3, v48, v51
	v_fmac_f32_e32 v0, v44, v46
	v_fma_f32 v1, v45, v46, -v1
	v_fmac_f32_e32 v2, v48, v50
	v_fma_f32 v3, v49, v50, -v3
	v_add_u32_e32 v4, 0x2400, v85
	ds_write2_b64 v4, v[0:1], v[2:3] offset0:48 offset1:168
	s_waitcnt vmcnt(0)
	v_mul_f32_e32 v0, v53, v55
	v_mul_f32_e32 v1, v52, v55
	v_fmac_f32_e32 v0, v52, v54
	v_fma_f32 v1, v53, v54, -v1
	ds_write_b64 v85, v[0:1] offset:11520
.LBB0_3:
	s_or_b64 exec, exec, s[6:7]
	s_load_dwordx2 s[2:3], s[4:5], 0x20
	s_load_dwordx2 s[16:17], s[4:5], 0x8
	v_mov_b32_e32 v0, 0
	v_mov_b32_e32 v1, 0
	s_waitcnt lgkmcnt(0)
	s_barrier
	s_waitcnt lgkmcnt(0)
                                        ; implicit-def: $vgpr6
                                        ; implicit-def: $vgpr18
                                        ; implicit-def: $vgpr20
                                        ; implicit-def: $vgpr24
                                        ; implicit-def: $vgpr14
                                        ; implicit-def: $vgpr10
	s_and_saveexec_b64 s[4:5], s[0:1]
	s_cbranch_execz .LBB0_5
; %bb.4:
	v_add_u32_e32 v4, 0x400, v85
	ds_read2_b64 v[8:11], v4 offset0:112 offset1:232
	v_add_u32_e32 v4, 0xc00, v85
	ds_read2_b64 v[12:15], v4 offset0:96 offset1:216
	v_add_u32_e32 v4, 0x1400, v85
	v_add_u32_e32 v16, 0x1c00, v85
	;; [unrolled: 1-line block ×3, first 2 shown]
	ds_read2_b64 v[0:3], v85 offset1:120
	ds_read2_b64 v[4:7], v4 offset0:80 offset1:200
	ds_read2_b64 v[16:19], v16 offset0:64 offset1:184
	;; [unrolled: 1-line block ×3, first 2 shown]
	ds_read_b64 v[24:25], v85 offset:11520
.LBB0_5:
	s_or_b64 exec, exec, s[4:5]
	s_waitcnt lgkmcnt(0)
	v_sub_f32_e32 v49, v3, v25
	v_mul_f32_e32 v35, 0xbeedf032, v49
	v_add_f32_e32 v26, v24, v2
	v_sub_f32_e32 v54, v2, v24
	v_mov_b32_e32 v28, v35
	v_add_f32_e32 v27, v25, v3
	s_mov_b32 s6, 0x3f62ad3f
	v_mul_f32_e32 v38, 0xbeedf032, v54
	v_fmac_f32_e32 v28, 0x3f62ad3f, v26
	v_sub_f32_e32 v55, v9, v23
	v_add_f32_e32 v30, v28, v0
	v_fma_f32 v28, v27, s6, -v38
	v_mul_f32_e32 v39, 0xbf52af12, v55
	v_add_f32_e32 v31, v28, v1
	v_add_f32_e32 v28, v22, v8
	v_sub_f32_e32 v60, v8, v22
	v_mov_b32_e32 v32, v39
	s_mov_b32 s7, 0x3f116cb1
	v_add_f32_e32 v29, v23, v9
	v_mul_f32_e32 v42, 0xbf52af12, v60
	v_fmac_f32_e32 v32, 0x3f116cb1, v28
	v_sub_f32_e32 v61, v11, v21
	v_add_f32_e32 v32, v32, v30
	v_fma_f32 v30, v29, s7, -v42
	v_mul_f32_e32 v43, 0xbf7e222b, v61
	v_add_f32_e32 v33, v30, v31
	v_add_f32_e32 v30, v20, v10
	v_sub_f32_e32 v65, v10, v20
	v_mov_b32_e32 v34, v43
	s_mov_b32 s8, 0x3df6dbef
	v_add_f32_e32 v31, v21, v11
	v_mul_f32_e32 v45, 0xbf7e222b, v65
	v_fmac_f32_e32 v34, 0x3df6dbef, v30
	v_sub_f32_e32 v66, v13, v19
	v_add_f32_e32 v32, v34, v32
	v_fma_f32 v34, v31, s8, -v45
	v_mul_f32_e32 v46, 0xbf6f5d39, v66
	v_add_f32_e32 v33, v34, v33
	v_add_f32_e32 v34, v18, v12
	v_sub_f32_e32 v74, v12, v18
	v_mov_b32_e32 v37, v46
	s_mov_b32 s9, 0xbeb58ec6
	v_add_f32_e32 v36, v19, v13
	v_mul_f32_e32 v47, 0xbf6f5d39, v74
	v_fmac_f32_e32 v37, 0xbeb58ec6, v34
	v_sub_f32_e32 v76, v15, v17
	v_add_f32_e32 v32, v37, v32
	v_fma_f32 v37, v36, s9, -v47
	v_mul_f32_e32 v48, 0xbf29c268, v76
	v_add_f32_e32 v33, v37, v33
	v_add_f32_e32 v37, v16, v14
	v_sub_f32_e32 v78, v14, v16
	v_mov_b32_e32 v41, v48
	s_mov_b32 s11, 0xbf3f9e67
	v_add_f32_e32 v40, v17, v15
	v_mul_f32_e32 v50, 0xbf29c268, v78
	v_fmac_f32_e32 v41, 0xbf3f9e67, v37
	v_sub_f32_e32 v79, v5, v7
	v_add_f32_e32 v32, v41, v32
	v_fma_f32 v41, v40, s11, -v50
	v_mul_f32_e32 v51, 0xbe750f2a, v79
	v_add_f32_e32 v33, v41, v33
	v_add_f32_e32 v41, v6, v4
	v_mov_b32_e32 v44, v51
	v_fmac_f32_e32 v44, 0xbf788fa5, v41
	v_sub_f32_e32 v81, v4, v6
	s_mov_b32 s10, 0xbf788fa5
	v_add_f32_e32 v57, v44, v32
	v_add_f32_e32 v44, v7, v5
	v_mul_f32_e32 v59, 0xbe750f2a, v81
	v_fma_f32 v32, v44, s10, -v59
	v_mul_f32_e32 v62, 0xbf52af12, v49
	v_add_f32_e32 v58, v32, v33
	v_mov_b32_e32 v32, v62
	v_mul_f32_e32 v63, 0xbf6f5d39, v55
	v_fmac_f32_e32 v32, 0x3f116cb1, v26
	v_mov_b32_e32 v33, v63
	v_add_f32_e32 v32, v32, v0
	v_fmac_f32_e32 v33, 0xbeb58ec6, v28
	v_mul_f32_e32 v69, 0xbf52af12, v54
	v_add_f32_e32 v32, v33, v32
	v_fma_f32 v33, v27, s7, -v69
	v_mul_f32_e32 v70, 0xbf6f5d39, v60
	v_add_f32_e32 v33, v33, v1
	v_fma_f32 v52, v29, s9, -v70
	v_mul_f32_e32 v64, 0xbe750f2a, v61
	v_add_f32_e32 v33, v52, v33
	v_mov_b32_e32 v52, v64
	v_fmac_f32_e32 v52, 0xbf788fa5, v30
	v_mul_f32_e32 v72, 0xbe750f2a, v65
	v_add_f32_e32 v32, v52, v32
	v_fma_f32 v52, v31, s10, -v72
	v_mul_f32_e32 v67, 0x3f29c268, v66
	v_add_f32_e32 v33, v52, v33
	v_mov_b32_e32 v52, v67
	v_fmac_f32_e32 v52, 0xbf3f9e67, v34
	;; [unrolled: 7-line block ×4, first 2 shown]
	v_mul_f32_e32 v77, 0x3eedf032, v81
	v_add_f32_e32 v32, v52, v32
	v_fma_f32 v52, v44, s6, -v77
	v_mul_f32_e32 v80, 0xbf7e222b, v49
	v_add_f32_e32 v33, v52, v33
	v_mov_b32_e32 v52, v80
	v_mul_f32_e32 v82, 0xbe750f2a, v55
	v_fmac_f32_e32 v52, 0x3df6dbef, v26
	v_mov_b32_e32 v53, v82
	v_add_f32_e32 v52, v52, v0
	v_fmac_f32_e32 v53, 0xbf788fa5, v28
	v_mul_f32_e32 v90, 0xbf7e222b, v54
	v_add_f32_e32 v52, v53, v52
	v_fma_f32 v53, v27, s8, -v90
	v_mul_f32_e32 v91, 0xbe750f2a, v60
	v_add_f32_e32 v53, v53, v1
	v_fma_f32 v83, v29, s10, -v91
	v_add_f32_e32 v53, v83, v53
	v_mul_f32_e32 v83, 0x3f6f5d39, v61
	v_mov_b32_e32 v84, v83
	v_fmac_f32_e32 v84, 0xbeb58ec6, v30
	v_mul_f32_e32 v92, 0x3f6f5d39, v65
	v_add_f32_e32 v52, v84, v52
	v_fma_f32 v84, v31, s9, -v92
	v_add_f32_e32 v53, v84, v53
	v_mul_f32_e32 v84, 0x3eedf032, v66
	v_mov_b32_e32 v87, v84
	v_fmac_f32_e32 v87, 0x3f62ad3f, v34
	v_mul_f32_e32 v93, 0x3eedf032, v74
	v_add_f32_e32 v52, v87, v52
	v_fma_f32 v87, v36, s6, -v93
	v_add_f32_e32 v53, v87, v53
	v_mul_f32_e32 v87, 0xbf52af12, v76
	v_mov_b32_e32 v88, v87
	v_fmac_f32_e32 v88, 0x3f116cb1, v37
	v_mul_f32_e32 v94, 0xbf52af12, v78
	v_add_f32_e32 v52, v88, v52
	v_fma_f32 v88, v40, s7, -v94
	v_mul_f32_e32 v89, 0xbf29c268, v79
	v_add_f32_e32 v53, v88, v53
	v_mov_b32_e32 v88, v89
	v_fmac_f32_e32 v88, 0xbf3f9e67, v41
	v_mul_f32_e32 v95, 0xbf29c268, v81
	v_add_f32_e32 v52, v88, v52
	v_fma_f32 v88, v44, s11, -v95
	v_add_f32_e32 v53, v88, v53
	v_mul_lo_u16_e32 v88, 13, v86
	s_barrier
	s_and_saveexec_b64 s[4:5], s[0:1]
	s_cbranch_execz .LBB0_7
; %bb.6:
	v_mul_f32_e32 v100, 0xbf3f9e67, v27
	v_mov_b32_e32 v96, v100
	v_mul_f32_e32 v101, 0x3df6dbef, v29
	v_fmac_f32_e32 v96, 0x3f29c268, v54
	v_mov_b32_e32 v97, v101
	v_add_f32_e32 v96, v96, v1
	v_fmac_f32_e32 v97, 0xbf7e222b, v60
	v_mul_f32_e32 v102, 0x3f116cb1, v31
	v_add_f32_e32 v96, v97, v96
	v_mov_b32_e32 v97, v102
	v_fmac_f32_e32 v97, 0x3f52af12, v65
	v_mul_f32_e32 v103, 0xbf788fa5, v36
	v_add_f32_e32 v96, v97, v96
	v_mov_b32_e32 v97, v103
	;; [unrolled: 4-line block ×5, first 2 shown]
	v_mul_f32_e32 v108, 0x3f7e222b, v55
	v_fmac_f32_e32 v96, 0xbf3f9e67, v26
	v_mov_b32_e32 v98, v108
	v_add_f32_e32 v96, v96, v0
	v_fmac_f32_e32 v98, 0x3df6dbef, v28
	v_mul_f32_e32 v109, 0xbf52af12, v61
	v_add_f32_e32 v96, v98, v96
	v_mov_b32_e32 v98, v109
	v_fmac_f32_e32 v98, 0x3f116cb1, v30
	v_mul_f32_e32 v110, 0x3e750f2a, v66
	v_add_f32_e32 v96, v98, v96
	v_mov_b32_e32 v98, v110
	v_fmac_f32_e32 v98, 0xbf788fa5, v34
	v_mul_f32_e32 v111, 0x3eedf032, v76
	v_add_f32_e32 v96, v98, v96
	v_mov_b32_e32 v98, v111
	v_fmac_f32_e32 v98, 0x3f62ad3f, v37
	v_mul_f32_e32 v112, 0xbf6f5d39, v79
	v_fmac_f32_e32 v100, 0xbf29c268, v54
	v_add_f32_e32 v96, v98, v96
	v_mov_b32_e32 v98, v112
	v_add_f32_e32 v100, v100, v1
	v_fmac_f32_e32 v101, 0x3f7e222b, v60
	v_fmac_f32_e32 v98, 0xbeb58ec6, v41
	v_mul_f32_e32 v113, 0xbe750f2a, v54
	v_add_f32_e32 v100, v101, v100
	v_fmac_f32_e32 v102, 0xbf52af12, v65
	v_add_f32_e32 v96, v98, v96
	v_mov_b32_e32 v98, v113
	v_mul_f32_e32 v114, 0x3eedf032, v60
	v_add_f32_e32 v100, v102, v100
	v_fmac_f32_e32 v103, 0x3e750f2a, v74
	v_fma_f32 v101, v26, s11, -v107
	v_fmac_f32_e32 v98, 0xbf788fa5, v27
	v_mov_b32_e32 v99, v114
	v_add_f32_e32 v100, v103, v100
	v_fmac_f32_e32 v105, 0x3eedf032, v78
	v_add_f32_e32 v101, v101, v0
	v_fma_f32 v102, v28, s8, -v108
	v_add_f32_e32 v98, v98, v1
	v_fmac_f32_e32 v99, 0x3f62ad3f, v29
	v_mul_f32_e32 v115, 0xbf29c268, v65
	v_add_f32_e32 v100, v105, v100
	v_add_f32_e32 v101, v102, v101
	v_fma_f32 v102, v30, s7, -v109
	v_fmac_f32_e32 v106, 0xbf6f5d39, v81
	v_add_f32_e32 v98, v99, v98
	v_mov_b32_e32 v99, v115
	v_add_f32_e32 v102, v102, v101
	v_add_f32_e32 v101, v106, v100
	v_mul_f32_e32 v106, 0xbf6f5d39, v54
	v_fmac_f32_e32 v99, 0xbf3f9e67, v31
	v_mul_f32_e32 v116, 0x3f52af12, v74
	v_mov_b32_e32 v54, v106
	v_mul_f32_e32 v109, 0x3f29c268, v60
	v_add_f32_e32 v98, v99, v98
	v_mov_b32_e32 v99, v116
	v_fmac_f32_e32 v54, 0xbeb58ec6, v27
	v_mov_b32_e32 v60, v109
	v_fmac_f32_e32 v99, 0x3f116cb1, v36
	v_mul_f32_e32 v117, 0xbf6f5d39, v78
	v_add_f32_e32 v54, v54, v1
	v_fmac_f32_e32 v60, 0xbf3f9e67, v29
	v_mul_f32_e32 v65, 0x3eedf032, v65
	v_add_f32_e32 v98, v99, v98
	v_mov_b32_e32 v99, v117
	v_add_f32_e32 v54, v60, v54
	v_mov_b32_e32 v60, v65
	v_fmac_f32_e32 v99, 0xbeb58ec6, v40
	v_mul_f32_e32 v118, 0x3f7e222b, v81
	v_fmac_f32_e32 v60, 0x3f62ad3f, v31
	v_mul_f32_e32 v74, 0xbf7e222b, v74
	v_add_f32_e32 v98, v99, v98
	v_mov_b32_e32 v99, v118
	v_add_f32_e32 v54, v60, v54
	v_mov_b32_e32 v60, v74
	v_fmac_f32_e32 v99, 0x3df6dbef, v44
	v_mul_f32_e32 v119, 0xbe750f2a, v49
	v_fmac_f32_e32 v60, 0x3df6dbef, v36
	v_mul_f32_e32 v78, 0x3e750f2a, v78
	v_add_f32_e32 v99, v99, v98
	v_fma_f32 v98, v26, s10, -v119
	v_mul_f32_e32 v120, 0x3eedf032, v55
	v_add_f32_e32 v54, v60, v54
	v_mov_b32_e32 v60, v78
	v_add_f32_e32 v98, v98, v0
	v_fma_f32 v121, v28, s6, -v120
	v_fmac_f32_e32 v60, 0xbf788fa5, v40
	v_mul_f32_e32 v81, 0x3f52af12, v81
	v_add_f32_e32 v98, v121, v98
	v_mul_f32_e32 v121, 0xbf29c268, v61
	v_add_f32_e32 v54, v60, v54
	v_mov_b32_e32 v60, v81
	v_fma_f32 v122, v30, s11, -v121
	v_fmac_f32_e32 v60, 0x3f116cb1, v44
	v_mul_f32_e32 v49, 0xbf6f5d39, v49
	v_add_f32_e32 v98, v122, v98
	v_mul_f32_e32 v122, 0x3f52af12, v66
	v_fma_f32 v100, v34, s10, -v110
	v_add_f32_e32 v103, v60, v54
	v_fma_f32 v54, v26, s9, -v49
	v_mul_f32_e32 v110, 0x3f29c268, v55
	v_fma_f32 v123, v34, s7, -v122
	v_add_f32_e32 v100, v100, v102
	v_fma_f32 v102, v37, s6, -v111
	v_add_f32_e32 v54, v54, v0
	v_fma_f32 v55, v28, s11, -v110
	v_mul_f32_e32 v111, 0x3eedf032, v61
	v_add_f32_e32 v98, v123, v98
	v_mul_f32_e32 v123, 0xbf6f5d39, v76
	v_add_f32_e32 v54, v55, v54
	v_fma_f32 v55, v30, s6, -v111
	v_mul_f32_e32 v66, 0xbf7e222b, v66
	v_fma_f32 v124, v37, s9, -v123
	v_add_f32_e32 v54, v55, v54
	v_fma_f32 v55, v34, s8, -v66
	v_mul_f32_e32 v76, 0x3e750f2a, v76
	v_add_f32_e32 v98, v124, v98
	v_mul_f32_e32 v124, 0x3f7e222b, v79
	v_add_f32_e32 v54, v55, v54
	v_fma_f32 v55, v37, s10, -v76
	v_mul_f32_e32 v79, 0x3f52af12, v79
	v_mul_f32_e32 v129, 0x3df6dbef, v27
	v_add_f32_e32 v100, v102, v100
	v_fma_f32 v102, v41, s9, -v112
	v_add_f32_e32 v54, v55, v54
	v_fma_f32 v55, v41, s7, -v79
	v_add_f32_e32 v100, v102, v100
	v_add_f32_e32 v102, v55, v54
	;; [unrolled: 1-line block ×3, first 2 shown]
	v_mul_f32_e32 v61, 0xbf788fa5, v29
	v_add_f32_e32 v61, v91, v61
	v_add_f32_e32 v55, v55, v1
	;; [unrolled: 1-line block ×3, first 2 shown]
	v_mul_f32_e32 v61, 0xbeb58ec6, v31
	v_add_f32_e32 v61, v92, v61
	v_add_f32_e32 v55, v61, v55
	v_mul_f32_e32 v61, 0x3f62ad3f, v36
	v_mul_f32_e32 v128, 0x3df6dbef, v26
	v_add_f32_e32 v61, v93, v61
	v_add_f32_e32 v2, v2, v0
	v_mul_f32_e32 v54, 0xbf788fa5, v28
	v_add_f32_e32 v55, v61, v55
	v_mul_f32_e32 v61, 0x3f116cb1, v40
	v_sub_f32_e32 v80, v128, v80
	v_add_f32_e32 v3, v3, v1
	v_add_f32_e32 v2, v8, v2
	v_fma_f32 v125, v41, s8, -v124
	v_add_f32_e32 v61, v94, v61
	v_mul_f32_e32 v94, 0xbeb58ec6, v30
	v_sub_f32_e32 v54, v54, v82
	v_add_f32_e32 v80, v80, v0
	v_add_f32_e32 v3, v9, v3
	;; [unrolled: 1-line block ×4, first 2 shown]
	v_mul_f32_e32 v125, 0x3f62ad3f, v27
	v_mul_f32_e32 v127, 0x3f116cb1, v27
	v_add_f32_e32 v54, v54, v80
	v_sub_f32_e32 v83, v94, v83
	v_add_f32_e32 v3, v11, v3
	v_add_f32_e32 v2, v12, v2
	v_mul_f32_e32 v107, 0x3f116cb1, v29
	v_mul_f32_e32 v60, 0xbeb58ec6, v29
	v_add_f32_e32 v54, v83, v54
	v_mul_f32_e32 v83, 0x3f62ad3f, v34
	v_add_f32_e32 v69, v69, v127
	v_add_f32_e32 v38, v38, v125
	;; [unrolled: 1-line block ×4, first 2 shown]
	v_mul_f32_e32 v91, 0x3df6dbef, v31
	v_mul_f32_e32 v93, 0xbf788fa5, v31
	v_add_f32_e32 v55, v61, v55
	v_mul_f32_e32 v61, 0xbf3f9e67, v44
	v_sub_f32_e32 v83, v83, v84
	v_add_f32_e32 v60, v70, v60
	v_add_f32_e32 v69, v69, v1
	v_add_f32_e32 v38, v38, v1
	v_add_f32_e32 v42, v42, v107
	v_add_f32_e32 v3, v15, v3
	v_add_f32_e32 v2, v4, v2
	v_fma_f32 v4, v27, s10, -v113
	v_add_f32_e32 v61, v95, v61
	v_mul_f32_e32 v82, 0xbeb58ec6, v36
	v_mul_f32_e32 v94, 0xbf3f9e67, v36
	v_add_f32_e32 v54, v83, v54
	v_mul_f32_e32 v83, 0x3f116cb1, v37
	v_add_f32_e32 v60, v60, v69
	v_add_f32_e32 v72, v72, v93
	v_add_f32_e32 v38, v42, v38
	v_add_f32_e32 v42, v45, v91
	v_add_f32_e32 v3, v5, v3
	v_add_f32_e32 v4, v4, v1
	v_fma_f32 v5, v29, s6, -v114
	v_sub_f32_e32 v83, v83, v87
	v_mul_f32_e32 v87, 0xbf3f9e67, v40
	v_add_f32_e32 v55, v61, v55
	v_mul_f32_e32 v61, 0x3df6dbef, v40
	v_add_f32_e32 v60, v72, v60
	v_add_f32_e32 v72, v73, v94
	;; [unrolled: 1-line block ×5, first 2 shown]
	v_fma_f32 v5, v31, s11, -v115
	v_mul_f32_e32 v104, 0x3f62ad3f, v26
	v_mul_f32_e32 v112, 0xbf788fa5, v44
	;; [unrolled: 1-line block ×3, first 2 shown]
	v_add_f32_e32 v60, v72, v60
	v_add_f32_e32 v61, v75, v61
	;; [unrolled: 1-line block ×5, first 2 shown]
	v_fma_f32 v5, v36, s7, -v116
	v_mul_f32_e32 v126, 0x3f116cb1, v26
	v_mul_f32_e32 v105, 0x3f116cb1, v28
	v_add_f32_e32 v60, v61, v60
	v_add_f32_e32 v61, v77, v69
	;; [unrolled: 1-line block ×4, first 2 shown]
	v_sub_f32_e32 v35, v104, v35
	v_add_f32_e32 v2, v6, v2
	v_add_f32_e32 v4, v5, v4
	v_fma_f32 v5, v40, s9, -v117
	v_fma_f32 v6, v27, s9, -v106
	v_mul_f32_e32 v108, 0xbeb58ec6, v28
	v_mul_f32_e32 v90, 0x3df6dbef, v30
	v_add_f32_e32 v61, v61, v60
	v_sub_f32_e32 v60, v126, v62
	v_add_f32_e32 v47, v42, v38
	v_add_f32_e32 v35, v35, v0
	v_sub_f32_e32 v38, v105, v39
	v_add_f32_e32 v3, v7, v3
	v_add_f32_e32 v4, v5, v4
	v_fma_f32 v5, v44, s8, -v118
	v_fmac_f32_e32 v119, 0xbf788fa5, v26
	v_add_f32_e32 v1, v6, v1
	v_fma_f32 v6, v29, s11, -v109
	v_fmac_f32_e32 v49, 0xbeb58ec6, v26
	v_mul_f32_e32 v92, 0xbf788fa5, v30
	v_mul_f32_e32 v95, 0xbeb58ec6, v34
	v_add_f32_e32 v54, v83, v54
	v_mul_f32_e32 v83, 0xbf3f9e67, v41
	v_add_f32_e32 v60, v60, v0
	v_sub_f32_e32 v62, v108, v63
	v_add_f32_e32 v35, v38, v35
	v_sub_f32_e32 v38, v90, v43
	v_add_f32_e32 v3, v17, v3
	v_add_f32_e32 v2, v16, v2
	;; [unrolled: 1-line block ×4, first 2 shown]
	v_fmac_f32_e32 v120, 0x3f62ad3f, v28
	v_add_f32_e32 v1, v6, v1
	v_fma_f32 v6, v31, s6, -v65
	v_add_f32_e32 v0, v49, v0
	v_fmac_f32_e32 v110, 0xbf3f9e67, v28
	v_mul_f32_e32 v80, 0xbf3f9e67, v34
	v_mul_f32_e32 v84, 0xbf3f9e67, v37
	v_sub_f32_e32 v83, v83, v89
	v_add_f32_e32 v60, v62, v60
	v_sub_f32_e32 v62, v92, v64
	v_add_f32_e32 v35, v38, v35
	;; [unrolled: 2-line block ×3, first 2 shown]
	v_add_f32_e32 v2, v18, v2
	v_add_f32_e32 v4, v120, v4
	v_fmac_f32_e32 v121, 0xbf3f9e67, v30
	v_add_f32_e32 v1, v6, v1
	v_fma_f32 v6, v36, s8, -v74
	v_add_f32_e32 v0, v110, v0
	v_fmac_f32_e32 v111, 0x3f62ad3f, v30
	v_mul_f32_e32 v89, 0x3df6dbef, v37
	v_add_f32_e32 v54, v83, v54
	v_mul_f32_e32 v83, 0xbf788fa5, v41
	v_add_f32_e32 v60, v62, v60
	v_sub_f32_e32 v62, v80, v67
	v_add_f32_e32 v35, v38, v35
	v_sub_f32_e32 v38, v84, v48
	v_add_f32_e32 v3, v21, v3
	v_add_f32_e32 v2, v20, v2
	;; [unrolled: 1-line block ×3, first 2 shown]
	v_fmac_f32_e32 v122, 0x3f116cb1, v34
	v_add_f32_e32 v1, v6, v1
	v_fma_f32 v6, v40, s10, -v78
	v_add_f32_e32 v0, v111, v0
	v_fmac_f32_e32 v66, 0x3df6dbef, v34
	v_mul_f32_e32 v70, 0x3f62ad3f, v41
	v_add_f32_e32 v60, v62, v60
	v_sub_f32_e32 v62, v89, v68
	v_add_f32_e32 v35, v38, v35
	v_sub_f32_e32 v38, v83, v51
	v_add_f32_e32 v3, v23, v3
	v_add_f32_e32 v2, v22, v2
	;; [unrolled: 1-line block ×3, first 2 shown]
	v_fmac_f32_e32 v123, 0xbeb58ec6, v37
	v_add_f32_e32 v1, v6, v1
	v_fma_f32 v6, v44, s7, -v81
	v_add_f32_e32 v0, v66, v0
	v_fmac_f32_e32 v76, 0xbf788fa5, v37
	v_add_f32_e32 v60, v62, v60
	v_sub_f32_e32 v62, v70, v71
	v_add_f32_e32 v46, v38, v35
	v_add_f32_e32 v3, v25, v3
	;; [unrolled: 1-line block ×4, first 2 shown]
	v_fmac_f32_e32 v124, 0x3df6dbef, v41
	v_add_f32_e32 v1, v6, v1
	v_add_f32_e32 v0, v76, v0
	v_fmac_f32_e32 v79, 0x3f116cb1, v41
	v_lshlrev_b32_e32 v6, 3, v88
	v_add_f32_e32 v60, v62, v60
	v_add_f32_e32 v4, v124, v4
	;; [unrolled: 1-line block ×3, first 2 shown]
	ds_write2_b64 v6, v[2:3], v[46:47] offset1:1
	ds_write2_b64 v6, v[60:61], v[54:55] offset0:2 offset1:3
	ds_write2_b64 v6, v[102:103], v[100:101] offset0:4 offset1:5
	;; [unrolled: 1-line block ×5, first 2 shown]
	ds_write_b64 v6, v[57:58] offset:96
.LBB0_7:
	s_or_b64 exec, exec, s[4:5]
	s_movk_i32 s18, 0x4f
	v_add_co_u32_e32 v10, vcc, 0x9c, v86
	v_mul_lo_u16_sdwa v23, v86, s18 dst_sel:DWORD dst_unused:UNUSED_PAD src0_sel:BYTE_0 src1_sel:DWORD
	s_movk_i32 s18, 0x4ec5
	s_mov_b64 s[6:7], vcc
	v_add_co_u32_e32 v8, vcc, 0x138, v86
	v_lshrrev_b16_e32 v24, 10, v23
	v_mul_u32_u24_sdwa v26, v10, s18 dst_sel:DWORD dst_unused:UNUSED_PAD src0_sel:WORD_0 src1_sel:DWORD
	v_mul_lo_u16_e32 v0, 13, v24
	v_lshrrev_b32_e32 v27, 18, v26
	v_mul_u32_u24_sdwa v29, v8, s18 dst_sel:DWORD dst_unused:UNUSED_PAD src0_sel:WORD_0 src1_sel:DWORD
	v_sub_u16_e32 v0, v86, v0
	v_mul_lo_u16_e32 v1, 13, v27
	v_lshrrev_b32_e32 v30, 18, v29
	s_load_dwordx4 s[8:11], s[2:3], 0x0
	s_mov_b64 s[2:3], vcc
	v_add_co_u32_e32 v81, vcc, 0x1d4, v86
	v_and_b32_e32 v25, 0xff, v0
	v_sub_u16_e32 v28, v10, v1
	v_mul_lo_u16_e32 v2, 13, v30
	v_lshlrev_b32_e32 v0, 3, v25
	v_lshlrev_b32_e32 v1, 3, v28
	v_sub_u16_e32 v31, v8, v2
	v_mul_u32_u24_sdwa v34, v81, s18 dst_sel:DWORD dst_unused:UNUSED_PAD src0_sel:WORD_0 src1_sel:DWORD
	s_waitcnt lgkmcnt(0)
	s_barrier
	global_load_dwordx2 v[63:64], v0, s[16:17]
	global_load_dwordx2 v[61:62], v1, s[16:17]
	v_lshlrev_b32_e32 v0, 3, v31
	v_lshrrev_b32_e32 v35, 18, v34
	global_load_dwordx2 v[59:60], v0, s[16:17]
	v_mul_lo_u16_e32 v0, 13, v35
	v_sub_u16_e32 v36, v81, v0
	v_lshlrev_b32_e32 v0, 3, v36
	global_load_dwordx2 v[65:66], v0, s[16:17]
	s_mov_b64 s[4:5], vcc
	v_add_co_u32_e32 v9, vcc, 0x270, v86
	v_mul_u32_u24_sdwa v37, v9, s18 dst_sel:DWORD dst_unused:UNUSED_PAD src0_sel:WORD_0 src1_sel:DWORD
	v_lshrrev_b32_e32 v38, 18, v37
	v_mul_lo_u16_e32 v0, 13, v38
	v_sub_u16_e32 v39, v9, v0
	v_lshlrev_b32_e32 v0, 3, v39
	global_load_dwordx2 v[67:68], v0, s[16:17]
	v_mov_b32_e32 v0, 3
	v_lshlrev_b32_sdwa v87, v0, v86 dst_sel:DWORD dst_unused:UNUSED_PAD src0_sel:DWORD src1_sel:WORD_0
	v_add_u32_e32 v40, 0x1200, v87
	v_add_u32_e32 v41, 0x1c00, v87
	ds_read2_b64 v[4:7], v40 offset0:48 offset1:204
	ds_read2_b64 v[0:3], v87 offset1:156
	v_add_u32_e32 v42, 0x800, v87
	v_add_u32_e32 v43, 0x2400, v87
	ds_read2_b64 v[11:14], v41 offset0:40 offset1:196
	ds_read2_b64 v[15:18], v42 offset0:56 offset1:212
	;; [unrolled: 1-line block ×3, first 2 shown]
	v_mul_u32_u24_e32 v24, 26, v24
	v_add_lshl_u32 v89, v24, v25, 3
	s_waitcnt vmcnt(0) lgkmcnt(0)
	s_barrier
	v_lshrrev_b16_e32 v24, 11, v23
	v_lshrrev_b32_e32 v26, 19, v26
	s_movk_i32 s18, 0x48
	v_mul_f32_e32 v44, v7, v64
	v_mul_f32_e32 v45, v6, v64
	v_fma_f32 v6, v6, v63, -v44
	v_fmac_f32_e32 v45, v7, v63
	v_sub_f32_e32 v6, v0, v6
	v_fma_f32 v0, v0, 2.0, -v6
	v_mul_f32_e32 v46, v12, v62
	v_mul_f32_e32 v47, v11, v62
	;; [unrolled: 1-line block ×4, first 2 shown]
	v_fma_f32 v19, v19, v65, -v7
	v_sub_f32_e32 v7, v1, v45
	v_fma_f32 v1, v1, 2.0, -v7
	ds_write2_b64 v89, v[0:1], v[6:7] offset1:13
	v_mad_legacy_u16 v0, v27, 26, v28
	v_lshlrev_b32_e32 v90, 3, v0
	v_mad_legacy_u16 v0, v30, 26, v31
	v_lshlrev_b32_e32 v91, 3, v0
	v_mad_legacy_u16 v0, v35, 26, v36
	v_fma_f32 v11, v11, v61, -v46
	v_fmac_f32_e32 v47, v12, v61
	v_lshlrev_b32_e32 v92, 3, v0
	v_mad_legacy_u16 v0, v38, 26, v39
	v_mul_f32_e32 v48, v14, v60
	v_mul_f32_e32 v49, v13, v60
	v_fmac_f32_e32 v44, v20, v65
	v_mul_f32_e32 v20, v22, v68
	v_mul_f32_e32 v46, v21, v68
	v_sub_f32_e32 v11, v2, v11
	v_sub_f32_e32 v12, v3, v47
	v_lshlrev_b32_e32 v93, 3, v0
	v_mul_lo_u16_e32 v0, 26, v24
	v_fma_f32 v13, v13, v59, -v48
	v_fmac_f32_e32 v49, v14, v59
	v_fma_f32 v21, v21, v67, -v20
	v_fmac_f32_e32 v46, v22, v67
	v_fma_f32 v2, v2, 2.0, -v11
	v_fma_f32 v3, v3, 2.0, -v12
	v_sub_u16_e32 v0, v86, v0
	v_lshrrev_b32_e32 v28, 19, v29
	v_lshrrev_b32_e32 v30, 19, v34
	v_sub_f32_e32 v13, v15, v13
	v_sub_f32_e32 v14, v16, v49
	;; [unrolled: 1-line block ×6, first 2 shown]
	ds_write2_b64 v90, v[2:3], v[11:12] offset1:13
	v_and_b32_e32 v25, 0xff, v0
	v_mul_lo_u16_e32 v1, 26, v26
	v_mul_lo_u16_e32 v2, 26, v28
	;; [unrolled: 1-line block ×3, first 2 shown]
	v_fma_f32 v15, v15, 2.0, -v13
	v_fma_f32 v16, v16, 2.0, -v14
	;; [unrolled: 1-line block ×6, first 2 shown]
	v_lshlrev_b32_e32 v0, 3, v25
	v_sub_u16_e32 v27, v10, v1
	v_sub_u16_e32 v29, v8, v2
	;; [unrolled: 1-line block ×3, first 2 shown]
	v_lshrrev_b32_e32 v34, 19, v37
	ds_write2_b64 v91, v[15:16], v[13:14] offset1:13
	ds_write2_b64 v92, v[17:18], v[19:20] offset1:13
	;; [unrolled: 1-line block ×3, first 2 shown]
	s_waitcnt lgkmcnt(0)
	s_barrier
	v_lshlrev_b32_e32 v1, 3, v27
	v_lshlrev_b32_e32 v2, 3, v29
	;; [unrolled: 1-line block ×3, first 2 shown]
	global_load_dwordx2 v[77:78], v0, s[16:17] offset:104
	global_load_dwordx2 v[73:74], v1, s[16:17] offset:104
	;; [unrolled: 1-line block ×4, first 2 shown]
	v_mul_lo_u16_e32 v0, 26, v34
	v_sub_u16_e32 v9, v9, v0
	v_lshlrev_b32_e32 v0, 3, v9
	global_load_dwordx2 v[75:76], v0, s[16:17] offset:104
	ds_read2_b64 v[0:3], v40 offset0:48 offset1:204
	ds_read2_b64 v[4:7], v87 offset1:156
	ds_read2_b64 v[11:14], v41 offset0:40 offset1:196
	ds_read2_b64 v[15:18], v42 offset0:56 offset1:212
	;; [unrolled: 1-line block ×3, first 2 shown]
	v_mul_u32_u24_e32 v24, 52, v24
	v_add_lshl_u32 v94, v24, v25, 3
	s_waitcnt vmcnt(0) lgkmcnt(0)
	s_barrier
	v_mul_f32_e32 v35, v3, v78
	v_mul_f32_e32 v36, v2, v78
	v_fma_f32 v2, v2, v77, -v35
	v_fmac_f32_e32 v36, v3, v77
	v_sub_f32_e32 v2, v4, v2
	v_sub_f32_e32 v3, v5, v36
	v_fma_f32 v4, v4, 2.0, -v2
	v_fma_f32 v5, v5, 2.0, -v3
	ds_write2_b64 v94, v[4:5], v[2:3] offset1:26
	v_mad_legacy_u16 v2, v26, 52, v27
	v_mul_f32_e32 v37, v12, v74
	v_mul_f32_e32 v38, v11, v74
	;; [unrolled: 1-line block ×8, first 2 shown]
	v_lshlrev_b32_e32 v95, 3, v2
	v_mad_legacy_u16 v2, v28, 52, v29
	v_fma_f32 v11, v11, v73, -v37
	v_fmac_f32_e32 v38, v12, v73
	v_fma_f32 v13, v13, v71, -v39
	v_fmac_f32_e32 v44, v14, v71
	;; [unrolled: 2-line block ×4, first 2 shown]
	v_lshlrev_b32_e32 v96, 3, v2
	v_mad_legacy_u16 v2, v30, 52, v31
	v_sub_f32_e32 v11, v6, v11
	v_sub_f32_e32 v12, v7, v38
	;; [unrolled: 1-line block ×8, first 2 shown]
	v_lshlrev_b32_e32 v97, 3, v2
	v_mad_legacy_u16 v2, v34, 52, v9
	v_fma_f32 v6, v6, 2.0, -v11
	v_fma_f32 v7, v7, 2.0, -v12
	v_fma_f32 v15, v15, 2.0, -v13
	v_fma_f32 v16, v16, 2.0, -v14
	v_fma_f32 v17, v17, 2.0, -v19
	v_fma_f32 v18, v18, 2.0, -v20
	v_fma_f32 v0, v0, 2.0, -v21
	v_fma_f32 v1, v1, 2.0, -v22
	v_lshlrev_b32_e32 v98, 3, v2
	v_lshrrev_b16_e32 v9, 12, v23
	ds_write2_b64 v95, v[6:7], v[11:12] offset1:26
	ds_write2_b64 v96, v[15:16], v[13:14] offset1:26
	ds_write2_b64 v97, v[17:18], v[19:20] offset1:26
	ds_write2_b64 v98, v[0:1], v[21:22] offset1:26
	v_mul_lo_u16_e32 v0, 52, v9
	v_sub_u16_e32 v0, v86, v0
	v_and_b32_e32 v44, 0xff, v0
	v_mov_b32_e32 v0, s16
	v_mov_b32_e32 v1, s17
	v_mad_u64_u32 v[20:21], s[18:19], v44, s18, v[0:1]
	s_waitcnt lgkmcnt(0)
	s_barrier
	global_load_dwordx4 v[16:19], v[20:21], off offset:312
	global_load_dwordx4 v[12:15], v[20:21], off offset:328
	;; [unrolled: 1-line block ×4, first 2 shown]
	global_load_dwordx2 v[79:80], v[20:21], off offset:376
	ds_read2_b64 v[20:23], v87 offset1:156
	ds_read2_b64 v[24:27], v42 offset0:56 offset1:212
	ds_read2_b64 v[28:31], v40 offset0:48 offset1:204
	;; [unrolled: 1-line block ×4, first 2 shown]
	v_addc_co_u32_e64 v11, s[6:7], 0, 0, s[6:7]
	s_mov_b32 s6, 0x3f737871
	s_mov_b32 s7, 0x3f167918
	s_mov_b32 s19, 0xbf167918
	v_mul_u32_u24_e32 v9, 0x208, v9
	s_mov_b32 s18, 0xbf737871
	v_add_lshl_u32 v99, v9, v44, 3
	v_add_u32_e32 v9, 0x400, v99
	s_waitcnt vmcnt(0) lgkmcnt(0)
	s_barrier
	v_mul_f32_e32 v42, v23, v17
	v_mul_f32_e32 v43, v22, v17
	;; [unrolled: 1-line block ×10, first 2 shown]
	v_fma_f32 v42, v22, v16, -v42
	v_fmac_f32_e32 v43, v23, v16
	v_fma_f32 v22, v24, v18, -v45
	v_fma_f32 v23, v26, v12, -v47
	;; [unrolled: 1-line block ×4, first 2 shown]
	v_fmac_f32_e32 v50, v29, v14
	v_fmac_f32_e32 v82, v35, v6
	v_mul_f32_e32 v29, v38, v3
	v_add_f32_e32 v35, v24, v26
	v_mul_f32_e32 v51, v31, v5
	v_mul_f32_e32 v83, v37, v1
	;; [unrolled: 1-line block ×3, first 2 shown]
	v_fmac_f32_e32 v46, v25, v18
	v_mul_f32_e32 v28, v39, v3
	v_fmac_f32_e32 v29, v39, v2
	v_fma_f32 v35, -0.5, v35, v20
	v_mul_f32_e32 v54, v30, v5
	v_fmac_f32_e32 v48, v27, v12
	v_fma_f32 v25, v30, v4, -v51
	v_fma_f32 v27, v36, v0, -v83
	v_fmac_f32_e32 v84, v37, v0
	v_fma_f32 v28, v38, v2, -v28
	v_mul_f32_e32 v30, v41, v80
	v_sub_f32_e32 v36, v46, v29
	v_mov_b32_e32 v37, v35
	v_fmac_f32_e32 v54, v31, v4
	v_fma_f32 v30, v40, v79, -v30
	v_mul_f32_e32 v31, v40, v80
	v_fmac_f32_e32 v37, 0x3f737871, v36
	v_sub_f32_e32 v38, v50, v82
	v_sub_f32_e32 v39, v22, v24
	;; [unrolled: 1-line block ×3, first 2 shown]
	v_fmac_f32_e32 v35, 0xbf737871, v36
	v_fmac_f32_e32 v37, 0x3f167918, v38
	v_add_f32_e32 v39, v39, v40
	v_fmac_f32_e32 v35, 0xbf167918, v38
	v_fmac_f32_e32 v37, 0x3e9e377a, v39
	;; [unrolled: 1-line block ×3, first 2 shown]
	v_add_f32_e32 v39, v22, v28
	v_fma_f32 v39, -0.5, v39, v20
	v_mov_b32_e32 v40, v39
	v_fmac_f32_e32 v31, v41, v79
	v_add_f32_e32 v34, v20, v22
	v_fmac_f32_e32 v40, 0xbf737871, v38
	v_sub_f32_e32 v20, v24, v22
	v_sub_f32_e32 v41, v26, v28
	v_fmac_f32_e32 v39, 0x3f737871, v38
	v_fmac_f32_e32 v40, 0x3f167918, v36
	v_add_f32_e32 v20, v20, v41
	v_fmac_f32_e32 v39, 0xbf167918, v36
	v_fmac_f32_e32 v40, 0x3e9e377a, v20
	;; [unrolled: 1-line block ×3, first 2 shown]
	v_add_f32_e32 v20, v21, v46
	v_add_f32_e32 v20, v20, v50
	;; [unrolled: 1-line block ×5, first 2 shown]
	v_fma_f32 v45, -0.5, v20, v21
	v_add_f32_e32 v34, v34, v24
	v_sub_f32_e32 v20, v22, v28
	v_mov_b32_e32 v47, v45
	v_add_f32_e32 v34, v34, v26
	v_fmac_f32_e32 v47, 0xbf737871, v20
	v_sub_f32_e32 v22, v24, v26
	v_sub_f32_e32 v24, v46, v50
	;; [unrolled: 1-line block ×3, first 2 shown]
	v_fmac_f32_e32 v45, 0x3f737871, v20
	v_fmac_f32_e32 v47, 0xbf167918, v22
	v_add_f32_e32 v24, v24, v26
	v_fmac_f32_e32 v45, 0x3f167918, v22
	v_fmac_f32_e32 v47, 0x3e9e377a, v24
	;; [unrolled: 1-line block ×3, first 2 shown]
	v_add_f32_e32 v24, v46, v29
	v_fma_f32 v49, -0.5, v24, v21
	v_mov_b32_e32 v51, v49
	v_fmac_f32_e32 v51, 0x3f737871, v22
	v_fmac_f32_e32 v49, 0xbf737871, v22
	;; [unrolled: 1-line block ×4, first 2 shown]
	v_add_f32_e32 v20, v42, v23
	v_add_f32_e32 v20, v20, v25
	;; [unrolled: 1-line block ×5, first 2 shown]
	v_sub_f32_e32 v21, v50, v46
	v_sub_f32_e32 v24, v82, v29
	v_fma_f32 v29, -0.5, v20, v42
	v_add_f32_e32 v21, v21, v24
	v_sub_f32_e32 v20, v48, v31
	v_mov_b32_e32 v38, v29
	v_fmac_f32_e32 v51, 0x3e9e377a, v21
	v_fmac_f32_e32 v49, 0x3e9e377a, v21
	;; [unrolled: 1-line block ×3, first 2 shown]
	v_sub_f32_e32 v21, v54, v84
	v_sub_f32_e32 v22, v23, v25
	;; [unrolled: 1-line block ×3, first 2 shown]
	v_fmac_f32_e32 v29, 0xbf737871, v20
	v_fmac_f32_e32 v38, 0x3f167918, v21
	v_add_f32_e32 v22, v22, v24
	v_fmac_f32_e32 v29, 0xbf167918, v21
	v_fmac_f32_e32 v38, 0x3e9e377a, v22
	v_fmac_f32_e32 v29, 0x3e9e377a, v22
	v_add_f32_e32 v22, v23, v30
	v_fmac_f32_e32 v42, -0.5, v22
	v_mov_b32_e32 v46, v42
	v_fmac_f32_e32 v46, 0xbf737871, v21
	v_fmac_f32_e32 v42, 0x3f737871, v21
	;; [unrolled: 1-line block ×4, first 2 shown]
	v_add_f32_e32 v20, v43, v48
	v_add_f32_e32 v20, v20, v54
	;; [unrolled: 1-line block ×5, first 2 shown]
	v_sub_f32_e32 v22, v25, v23
	v_sub_f32_e32 v24, v27, v30
	v_fma_f32 v55, -0.5, v20, v43
	v_add_f32_e32 v22, v22, v24
	v_sub_f32_e32 v20, v23, v30
	v_mov_b32_e32 v23, v55
	v_fmac_f32_e32 v46, 0x3e9e377a, v22
	v_fmac_f32_e32 v42, 0x3e9e377a, v22
	;; [unrolled: 1-line block ×3, first 2 shown]
	v_sub_f32_e32 v21, v25, v27
	v_sub_f32_e32 v22, v48, v54
	;; [unrolled: 1-line block ×3, first 2 shown]
	v_fmac_f32_e32 v55, 0x3f737871, v20
	v_fmac_f32_e32 v23, 0xbf167918, v21
	v_add_f32_e32 v22, v22, v24
	v_fmac_f32_e32 v55, 0x3f167918, v21
	v_fmac_f32_e32 v23, 0x3e9e377a, v22
	v_fmac_f32_e32 v55, 0x3e9e377a, v22
	v_add_f32_e32 v22, v48, v31
	v_fmac_f32_e32 v43, -0.5, v22
	v_mov_b32_e32 v25, v43
	v_fmac_f32_e32 v25, 0x3f737871, v21
	v_sub_f32_e32 v22, v54, v48
	v_sub_f32_e32 v24, v84, v31
	v_fmac_f32_e32 v43, 0xbf737871, v21
	v_fmac_f32_e32 v25, 0xbf167918, v20
	v_add_f32_e32 v22, v22, v24
	v_fmac_f32_e32 v43, 0x3f167918, v20
	v_fmac_f32_e32 v25, 0x3e9e377a, v22
	;; [unrolled: 1-line block ×3, first 2 shown]
	v_mul_f32_e32 v21, 0x3e9e377a, v42
	v_mul_f32_e32 v31, 0x3f167918, v23
	;; [unrolled: 1-line block ×3, first 2 shown]
	v_fma_f32 v54, v43, s6, -v21
	v_mul_f32_e32 v21, 0x3f4f1bbd, v29
	v_mul_f32_e32 v83, 0xbf167918, v38
	;; [unrolled: 1-line block ×3, first 2 shown]
	v_add_f32_e32 v34, v34, v28
	v_fmac_f32_e32 v31, 0x3f4f1bbd, v38
	v_fmac_f32_e32 v48, 0x3e9e377a, v46
	v_fma_f32 v82, v55, s7, -v21
	v_fmac_f32_e32 v83, 0x3f4f1bbd, v23
	v_mul_f32_e32 v46, 0xbf737871, v46
	v_mul_f32_e32 v27, 0x3e9e377a, v43
	v_fma_f32 v43, v29, s19, -v30
	v_add_f32_e32 v20, v34, v36
	v_add_f32_e32 v22, v37, v31
	;; [unrolled: 1-line block ×5, first 2 shown]
	v_fmac_f32_e32 v46, 0x3e9e377a, v25
	v_fma_f32 v42, v42, s18, -v27
	v_add_f32_e32 v29, v45, v43
	v_sub_f32_e32 v30, v34, v36
	v_sub_f32_e32 v36, v37, v31
	;; [unrolled: 1-line block ×3, first 2 shown]
	v_add_f32_e32 v24, v40, v48
	v_add_f32_e32 v26, v39, v54
	;; [unrolled: 1-line block ×4, first 2 shown]
	v_sub_f32_e32 v38, v40, v48
	v_sub_f32_e32 v40, v39, v54
	;; [unrolled: 1-line block ×6, first 2 shown]
	ds_write2_b64 v99, v[20:21], v[22:23] offset1:52
	ds_write2_b64 v99, v[24:25], v[26:27] offset0:104 offset1:156
	ds_write2_b64 v9, v[28:29], v[30:31] offset0:80 offset1:132
	v_add_u32_e32 v9, 0x800, v99
	v_add_u32_e32 v82, 0x900, v87
	;; [unrolled: 1-line block ×4, first 2 shown]
	v_sub_f32_e32 v35, v45, v43
	ds_write2_b64 v9, v[36:37], v[38:39] offset0:56 offset1:108
	ds_write2_b64 v9, v[40:41], v[34:35] offset0:160 offset1:212
	s_waitcnt lgkmcnt(0)
	s_barrier
	ds_read2_b64 v[36:39], v87 offset1:156
	ds_read2_b64 v[40:43], v82 offset0:24 offset1:232
	ds_read2_b64 v[44:47], v84 offset0:16 offset1:172
	;; [unrolled: 1-line block ×3, first 2 shown]
	ds_read_b64 v[54:55], v87 offset:10816
	v_addc_co_u32_e64 v9, s[2:3], 0, 0, s[2:3]
	v_addc_co_u32_e64 v100, s[2:3], 0, 0, s[4:5]
	v_cmp_gt_u16_e64 s[2:3], 52, v86
	s_and_saveexec_b64 s[4:5], s[2:3]
	s_cbranch_execz .LBB0_9
; %bb.8:
	ds_read_b64 v[34:35], v87 offset:3744
	ds_read_b64 v[52:53], v87 offset:7904
	;; [unrolled: 1-line block ×3, first 2 shown]
.LBB0_9:
	s_or_b64 exec, exec, s[4:5]
	v_lshlrev_b64 v[10:11], 4, v[10:11]
	v_mov_b32_e32 v101, s17
	v_add_co_u32_e32 v10, vcc, s16, v10
	v_lshlrev_b64 v[8:9], 4, v[8:9]
	v_addc_co_u32_e32 v11, vcc, v101, v11, vcc
	v_add_co_u32_e32 v8, vcc, s16, v8
	v_lshlrev_b32_e32 v20, 4, v86
	v_addc_co_u32_e32 v9, vcc, v101, v9, vcc
	s_movk_i32 s4, 0xffcc
	global_load_dwordx4 v[20:23], v20, s[16:17] offset:4056
	s_nop 0
	global_load_dwordx4 v[28:31], v[8:9], off offset:4056
	v_add_co_u32_e32 v8, vcc, s4, v86
	v_addc_co_u32_e64 v9, s[4:5], 0, -1, vcc
	v_cndmask_b32_e64 v9, v9, v100, s[2:3]
	v_cndmask_b32_e64 v8, v8, v81, s[2:3]
	v_lshlrev_b64 v[8:9], 4, v[8:9]
	global_load_dwordx4 v[24:27], v[10:11], off offset:4056
	v_add_co_u32_e32 v8, vcc, s16, v8
	v_addc_co_u32_e32 v9, vcc, v101, v9, vcc
	global_load_dwordx4 v[8:11], v[8:9], off offset:4056
	s_waitcnt vmcnt(3) lgkmcnt(3)
	v_mul_f32_e32 v81, v43, v21
	v_mul_f32_e32 v100, v42, v21
	s_waitcnt lgkmcnt(2)
	v_mul_f32_e32 v101, v45, v23
	v_mul_f32_e32 v102, v44, v23
	v_fma_f32 v42, v42, v20, -v81
	v_fmac_f32_e32 v100, v43, v20
	v_fma_f32 v43, v44, v22, -v101
	v_fmac_f32_e32 v102, v45, v22
	s_waitcnt vmcnt(2) lgkmcnt(1)
	v_mul_f32_e32 v103, v51, v29
	v_mul_f32_e32 v104, v50, v29
	s_waitcnt vmcnt(1)
	v_mul_f32_e32 v81, v48, v25
	v_mul_f32_e32 v45, v47, v27
	;; [unrolled: 1-line block ×3, first 2 shown]
	v_add_f32_e32 v110, v37, v100
	v_fmac_f32_e32 v81, v49, v24
	v_mul_f32_e32 v44, v49, v25
	s_waitcnt lgkmcnt(0)
	v_mul_f32_e32 v105, v55, v31
	v_add_f32_e32 v107, v36, v42
	v_sub_f32_e32 v109, v100, v102
	v_add_f32_e32 v100, v100, v102
	v_fma_f32 v112, v46, v26, -v45
	v_fmac_f32_e32 v101, v47, v26
	v_fma_f32 v103, v50, v28, -v103
	v_fmac_f32_e32 v104, v51, v28
	v_add_f32_e32 v45, v110, v102
	v_add_f32_e32 v51, v39, v81
	s_waitcnt vmcnt(0)
	v_mul_f32_e32 v102, v33, v11
	v_mul_f32_e32 v106, v54, v31
	v_add_f32_e32 v108, v42, v43
	v_sub_f32_e32 v42, v42, v43
	v_fma_f32 v111, v48, v24, -v44
	v_fma_f32 v105, v54, v30, -v105
	v_add_f32_e32 v44, v107, v43
	v_sub_f32_e32 v43, v81, v101
	v_add_f32_e32 v54, v81, v101
	v_mul_f32_e32 v81, v53, v9
	v_mul_f32_e32 v107, v32, v11
	v_add_f32_e32 v51, v51, v101
	v_fma_f32 v101, v32, v10, -v102
	v_add_f32_e32 v32, v40, v103
	v_fma_f32 v49, -0.5, v100, v37
	v_mul_f32_e32 v100, v52, v9
	v_fma_f32 v81, v52, v8, -v81
	v_add_f32_e32 v52, v32, v105
	v_add_f32_e32 v32, v103, v105
	v_fmac_f32_e32 v106, v55, v30
	v_fma_f32 v40, -0.5, v32, v40
	v_fmac_f32_e32 v39, -0.5, v54
	v_sub_f32_e32 v32, v104, v106
	v_mov_b32_e32 v54, v40
	v_fmac_f32_e32 v54, 0x3f5db3d7, v32
	v_fmac_f32_e32 v40, 0xbf5db3d7, v32
	v_add_f32_e32 v32, v41, v104
	v_add_f32_e32 v37, v111, v112
	v_fmac_f32_e32 v100, v53, v8
	v_add_f32_e32 v53, v32, v106
	v_add_f32_e32 v32, v104, v106
	v_fma_f32 v48, -0.5, v108, v36
	v_add_f32_e32 v36, v38, v111
	v_sub_f32_e32 v55, v111, v112
	v_fma_f32 v38, -0.5, v37, v38
	v_mov_b32_e32 v37, v39
	v_fmac_f32_e32 v41, -0.5, v32
	v_fmac_f32_e32 v37, 0xbf5db3d7, v55
	v_fmac_f32_e32 v39, 0x3f5db3d7, v55
	v_sub_f32_e32 v32, v103, v105
	v_mov_b32_e32 v55, v41
	v_mov_b32_e32 v47, v49
	v_fmac_f32_e32 v55, 0xbf5db3d7, v32
	v_fmac_f32_e32 v41, 0x3f5db3d7, v32
	v_add_f32_e32 v32, v34, v81
	v_fmac_f32_e32 v49, 0x3f5db3d7, v42
	v_fmac_f32_e32 v47, 0xbf5db3d7, v42
	v_add_f32_e32 v42, v32, v101
	v_add_f32_e32 v32, v81, v101
	v_fmac_f32_e32 v107, v33, v10
	v_fmac_f32_e32 v34, -0.5, v32
	v_sub_f32_e32 v33, v100, v107
	v_mov_b32_e32 v32, v34
	v_add_f32_e32 v50, v36, v112
	v_mov_b32_e32 v36, v38
	v_fmac_f32_e32 v32, 0x3f5db3d7, v33
	v_fmac_f32_e32 v34, 0xbf5db3d7, v33
	v_add_f32_e32 v33, v35, v100
	v_fmac_f32_e32 v38, 0xbf5db3d7, v43
	v_fmac_f32_e32 v36, 0x3f5db3d7, v43
	v_add_f32_e32 v43, v33, v107
	v_add_f32_e32 v33, v100, v107
	v_fmac_f32_e32 v35, -0.5, v33
	v_mov_b32_e32 v46, v48
	v_sub_f32_e32 v81, v81, v101
	v_mov_b32_e32 v33, v35
	v_fmac_f32_e32 v48, 0xbf5db3d7, v109
	v_fmac_f32_e32 v46, 0x3f5db3d7, v109
	;; [unrolled: 1-line block ×4, first 2 shown]
	ds_write2_b64 v87, v[44:45], v[50:51] offset1:156
	ds_write2_b64 v84, v[48:49], v[38:39] offset0:16 offset1:172
	ds_write2_b64 v82, v[52:53], v[46:47] offset0:24 offset1:232
	;; [unrolled: 1-line block ×3, first 2 shown]
	ds_write_b64 v87, v[40:41] offset:10816
	s_and_saveexec_b64 s[4:5], s[2:3]
	s_cbranch_execz .LBB0_11
; %bb.10:
	ds_write_b64 v87, v[42:43] offset:3744
	ds_write_b64 v87, v[32:33] offset:7904
	ds_write_b64 v87, v[34:35] offset:12064
.LBB0_11:
	s_or_b64 exec, exec, s[4:5]
	s_waitcnt lgkmcnt(0)
	s_barrier
	s_and_saveexec_b64 s[4:5], s[0:1]
	s_cbranch_execz .LBB0_13
; %bb.12:
	v_add_co_u32_e32 v106, vcc, s14, v85
	v_mov_b32_e32 v81, s15
	v_addc_co_u32_e32 v107, vcc, 0, v81, vcc
	v_add_co_u32_e32 v100, vcc, 0x30c0, v106
	v_addc_co_u32_e32 v101, vcc, 0, v107, vcc
	v_add_co_u32_e32 v83, vcc, 0x3000, v106
	v_addc_co_u32_e32 v84, vcc, 0, v107, vcc
	global_load_dwordx2 v[83:84], v[83:84], off offset:192
	ds_read_b64 v[81:82], v87
	v_add_u32_e32 v108, 0x800, v85
	s_movk_i32 s6, 0x4000
	s_waitcnt vmcnt(0) lgkmcnt(0)
	v_mul_f32_e32 v102, v82, v84
	v_mul_f32_e32 v103, v81, v84
	v_fma_f32 v102, v81, v83, -v102
	v_fmac_f32_e32 v103, v82, v83
	ds_write_b64 v87, v[102:103]
	global_load_dwordx2 v[102:103], v[100:101], off offset:960
	ds_read2_b64 v[81:84], v85 offset0:120 offset1:240
	s_waitcnt vmcnt(0) lgkmcnt(0)
	v_mul_f32_e32 v104, v82, v103
	v_mul_f32_e32 v105, v81, v103
	v_fma_f32 v104, v81, v102, -v104
	v_fmac_f32_e32 v105, v82, v102
	global_load_dwordx2 v[81:82], v[100:101], off offset:1920
	s_waitcnt vmcnt(0)
	v_mul_f32_e32 v102, v84, v82
	v_mul_f32_e32 v103, v83, v82
	v_fma_f32 v102, v83, v81, -v102
	v_fmac_f32_e32 v103, v84, v81
	ds_write2_b64 v85, v[104:105], v[102:103] offset0:120 offset1:240
	global_load_dwordx2 v[102:103], v[100:101], off offset:2880
	ds_read2_b64 v[81:84], v108 offset0:104 offset1:224
	s_waitcnt vmcnt(0) lgkmcnt(0)
	v_mul_f32_e32 v104, v82, v103
	v_mul_f32_e32 v105, v81, v103
	v_fma_f32 v104, v81, v102, -v104
	v_fmac_f32_e32 v105, v82, v102
	global_load_dwordx2 v[81:82], v[100:101], off offset:3840
	s_waitcnt vmcnt(0)
	v_mul_f32_e32 v100, v84, v82
	v_mul_f32_e32 v101, v83, v82
	v_fma_f32 v100, v83, v81, -v100
	v_fmac_f32_e32 v101, v84, v81
	ds_write2_b64 v108, v[104:105], v[100:101] offset0:104 offset1:224
	v_add_co_u32_e32 v100, vcc, s6, v106
	v_addc_co_u32_e32 v101, vcc, 0, v107, vcc
	global_load_dwordx2 v[102:103], v[100:101], off offset:896
	v_add_u32_e32 v108, 0x1000, v85
	ds_read2_b64 v[81:84], v108 offset0:88 offset1:208
	s_movk_i32 s6, 0x5000
	s_waitcnt vmcnt(0) lgkmcnt(0)
	v_mul_f32_e32 v104, v82, v103
	v_mul_f32_e32 v105, v81, v103
	v_fma_f32 v104, v81, v102, -v104
	v_fmac_f32_e32 v105, v82, v102
	global_load_dwordx2 v[81:82], v[100:101], off offset:1856
	s_waitcnt vmcnt(0)
	v_mul_f32_e32 v102, v84, v82
	v_mul_f32_e32 v103, v83, v82
	v_fma_f32 v102, v83, v81, -v102
	v_fmac_f32_e32 v103, v84, v81
	ds_write2_b64 v108, v[104:105], v[102:103] offset0:88 offset1:208
	global_load_dwordx2 v[102:103], v[100:101], off offset:2816
	v_add_u32_e32 v108, 0x1800, v85
	ds_read2_b64 v[81:84], v108 offset0:72 offset1:192
	s_waitcnt vmcnt(0) lgkmcnt(0)
	v_mul_f32_e32 v104, v82, v103
	v_mul_f32_e32 v105, v81, v103
	v_fma_f32 v104, v81, v102, -v104
	v_fmac_f32_e32 v105, v82, v102
	global_load_dwordx2 v[81:82], v[100:101], off offset:3776
	s_waitcnt vmcnt(0)
	v_mul_f32_e32 v100, v84, v82
	v_mul_f32_e32 v101, v83, v82
	v_fma_f32 v100, v83, v81, -v100
	v_fmac_f32_e32 v101, v84, v81
	ds_write2_b64 v108, v[104:105], v[100:101] offset0:72 offset1:192
	v_add_co_u32_e32 v100, vcc, s6, v106
	v_addc_co_u32_e32 v101, vcc, 0, v107, vcc
	global_load_dwordx2 v[102:103], v[100:101], off offset:640
	v_add_u32_e32 v108, 0x2000, v85
	ds_read2_b64 v[81:84], v108 offset0:56 offset1:176
	v_add_u32_e32 v106, 0x2800, v85
	s_waitcnt vmcnt(0) lgkmcnt(0)
	v_mul_f32_e32 v104, v82, v103
	v_mul_f32_e32 v105, v81, v103
	v_fma_f32 v104, v81, v102, -v104
	v_fmac_f32_e32 v105, v82, v102
	global_load_dwordx2 v[81:82], v[100:101], off offset:1600
	s_waitcnt vmcnt(0)
	v_mul_f32_e32 v102, v84, v82
	v_mul_f32_e32 v103, v83, v82
	v_fma_f32 v102, v83, v81, -v102
	v_fmac_f32_e32 v103, v84, v81
	ds_write2_b64 v108, v[104:105], v[102:103] offset0:56 offset1:176
	global_load_dwordx2 v[102:103], v[100:101], off offset:2560
	ds_read2_b64 v[81:84], v106 offset0:40 offset1:160
	s_waitcnt vmcnt(0) lgkmcnt(0)
	v_mul_f32_e32 v104, v82, v103
	v_mul_f32_e32 v105, v81, v103
	v_fma_f32 v104, v81, v102, -v104
	v_fmac_f32_e32 v105, v82, v102
	global_load_dwordx2 v[81:82], v[100:101], off offset:3520
	s_waitcnt vmcnt(0)
	v_mul_f32_e32 v100, v84, v82
	v_mul_f32_e32 v101, v83, v82
	v_fma_f32 v100, v83, v81, -v100
	v_fmac_f32_e32 v101, v84, v81
	ds_write2_b64 v106, v[104:105], v[100:101] offset0:40 offset1:160
.LBB0_13:
	s_or_b64 exec, exec, s[4:5]
	s_waitcnt lgkmcnt(0)
	s_barrier
	s_and_saveexec_b64 s[4:5], s[0:1]
	s_cbranch_execz .LBB0_15
; %bb.14:
	v_add_u32_e32 v32, 0x400, v87
	ds_read2_b64 v[48:51], v32 offset0:112 offset1:232
	v_add_u32_e32 v32, 0xc00, v87
	ds_read2_b64 v[36:39], v32 offset0:96 offset1:216
	;; [unrolled: 2-line block ×4, first 2 shown]
	v_add_u32_e32 v32, 0x2400, v87
	ds_read2_b64 v[44:47], v87 offset1:120
	ds_read2_b64 v[32:35], v32 offset0:48 offset1:168
	ds_read_b64 v[57:58], v87 offset:11520
.LBB0_15:
	s_or_b64 exec, exec, s[4:5]
	s_waitcnt lgkmcnt(0)
	v_sub_f32_e32 v112, v47, v58
	v_add_f32_e32 v100, v57, v46
	v_add_f32_e32 v114, v58, v47
	s_mov_b32 s6, 0x3f116cb1
	v_mul_f32_e32 v116, 0xbf52af12, v112
	v_sub_f32_e32 v113, v49, v35
	v_mul_f32_e32 v119, 0x3f116cb1, v114
	v_fma_f32 v81, v100, s6, -v116
	v_add_f32_e32 v101, v34, v48
	v_add_f32_e32 v117, v35, v49
	s_mov_b32 s16, 0xbeb58ec6
	v_mul_f32_e32 v121, 0xbf6f5d39, v113
	v_sub_f32_e32 v102, v46, v57
	v_add_f32_e32 v81, v44, v81
	v_mov_b32_e32 v82, v119
	v_mul_f32_e32 v124, 0xbeb58ec6, v117
	v_fma_f32 v104, v101, s16, -v121
	v_fmac_f32_e32 v82, 0xbf52af12, v102
	s_mov_b32 s7, 0x3df6dbef
	v_mul_f32_e32 v125, 0xbf7e222b, v112
	v_sub_f32_e32 v103, v48, v34
	v_add_f32_e32 v81, v104, v81
	v_mov_b32_e32 v104, v124
	v_add_f32_e32 v82, v45, v82
	v_mul_f32_e32 v128, 0x3df6dbef, v114
	v_fma_f32 v83, v100, s7, -v125
	v_fmac_f32_e32 v104, 0xbf6f5d39, v103
	s_mov_b32 s17, 0xbf788fa5
	v_mul_f32_e32 v131, 0xbe750f2a, v113
	v_add_f32_e32 v83, v44, v83
	v_mov_b32_e32 v84, v128
	v_add_f32_e32 v82, v104, v82
	v_mul_f32_e32 v134, 0xbf788fa5, v117
	v_fma_f32 v104, v101, s17, -v131
	v_fmac_f32_e32 v84, 0xbf7e222b, v102
	v_add_f32_e32 v83, v104, v83
	v_mov_b32_e32 v104, v134
	v_add_f32_e32 v84, v45, v84
	v_fmac_f32_e32 v104, 0xbe750f2a, v103
	v_sub_f32_e32 v115, v51, v33
	v_add_f32_e32 v84, v104, v84
	v_add_f32_e32 v104, v32, v50
	;; [unrolled: 1-line block ×3, first 2 shown]
	v_mul_f32_e32 v126, 0xbe750f2a, v115
	v_mul_f32_e32 v130, 0xbf788fa5, v120
	v_fma_f32 v105, v104, s17, -v126
	v_sub_f32_e32 v106, v50, v32
	v_add_f32_e32 v81, v105, v81
	v_mov_b32_e32 v105, v130
	v_fmac_f32_e32 v105, 0xbe750f2a, v106
	v_mul_f32_e32 v136, 0x3f6f5d39, v115
	v_add_f32_e32 v82, v105, v82
	v_mul_f32_e32 v138, 0xbeb58ec6, v120
	v_fma_f32 v105, v104, s16, -v136
	v_add_f32_e32 v83, v105, v83
	v_mov_b32_e32 v105, v138
	v_fmac_f32_e32 v105, 0x3f6f5d39, v106
	v_sub_f32_e32 v118, v37, v43
	v_add_f32_e32 v84, v105, v84
	v_add_f32_e32 v105, v42, v36
	;; [unrolled: 1-line block ×3, first 2 shown]
	s_mov_b32 s18, 0xbf3f9e67
	v_mul_f32_e32 v132, 0x3f29c268, v118
	v_mul_f32_e32 v135, 0xbf3f9e67, v123
	v_fma_f32 v108, v105, s18, -v132
	v_sub_f32_e32 v107, v36, v42
	v_add_f32_e32 v81, v108, v81
	v_mov_b32_e32 v108, v135
	v_fmac_f32_e32 v108, 0x3f29c268, v107
	s_mov_b32 s19, 0x3f62ad3f
	v_mul_f32_e32 v140, 0x3eedf032, v118
	v_add_f32_e32 v82, v108, v82
	v_mul_f32_e32 v142, 0x3f62ad3f, v123
	v_fma_f32 v108, v105, s19, -v140
	v_add_f32_e32 v83, v108, v83
	v_mov_b32_e32 v108, v142
	v_fmac_f32_e32 v108, 0x3eedf032, v107
	v_sub_f32_e32 v122, v39, v41
	v_add_f32_e32 v84, v108, v84
	v_add_f32_e32 v108, v40, v38
	;; [unrolled: 1-line block ×3, first 2 shown]
	v_mul_f32_e32 v137, 0x3f7e222b, v122
	v_mul_f32_e32 v139, 0x3df6dbef, v129
	v_fma_f32 v110, v108, s7, -v137
	v_sub_f32_e32 v109, v38, v40
	v_add_f32_e32 v81, v110, v81
	v_mov_b32_e32 v110, v139
	v_fmac_f32_e32 v110, 0x3f7e222b, v109
	v_mul_f32_e32 v144, 0xbf52af12, v122
	v_add_f32_e32 v82, v110, v82
	v_mul_f32_e32 v145, 0x3f116cb1, v129
	v_fma_f32 v110, v108, s6, -v144
	v_add_f32_e32 v83, v110, v83
	v_mov_b32_e32 v110, v145
	v_fmac_f32_e32 v110, 0xbf52af12, v109
	v_sub_f32_e32 v127, v53, v55
	v_add_f32_e32 v84, v110, v84
	v_add_f32_e32 v110, v54, v52
	;; [unrolled: 1-line block ×3, first 2 shown]
	v_mul_f32_e32 v141, 0x3eedf032, v127
	v_mul_f32_e32 v143, 0x3f62ad3f, v133
	v_fma_f32 v146, v110, s19, -v141
	v_sub_f32_e32 v111, v52, v54
	v_add_f32_e32 v81, v146, v81
	v_mov_b32_e32 v146, v143
	v_fmac_f32_e32 v146, 0x3eedf032, v111
	v_add_f32_e32 v82, v146, v82
	v_mul_f32_e32 v146, 0xbf29c268, v127
	v_mul_f32_e32 v147, 0xbf3f9e67, v133
	v_fma_f32 v148, v110, s18, -v146
	v_add_f32_e32 v83, v148, v83
	v_mov_b32_e32 v148, v147
	v_fmac_f32_e32 v148, 0xbf29c268, v111
	v_add_f32_e32 v84, v148, v84
	s_barrier
	s_and_saveexec_b64 s[4:5], s[0:1]
	s_cbranch_execz .LBB0_17
; %bb.16:
	v_mul_f32_e32 v152, 0xbf29c268, v102
	v_mov_b32_e32 v148, v152
	v_mul_f32_e32 v153, 0x3f7e222b, v103
	v_fmac_f32_e32 v148, 0xbf3f9e67, v114
	v_mov_b32_e32 v149, v153
	v_add_f32_e32 v148, v45, v148
	v_fmac_f32_e32 v149, 0x3df6dbef, v117
	v_mul_f32_e32 v154, 0xbf52af12, v106
	v_add_f32_e32 v148, v149, v148
	v_mov_b32_e32 v149, v154
	v_fmac_f32_e32 v149, 0x3f116cb1, v120
	v_mul_f32_e32 v155, 0x3e750f2a, v107
	v_add_f32_e32 v148, v149, v148
	v_mov_b32_e32 v149, v155
	;; [unrolled: 4-line block ×4, first 2 shown]
	v_fmac_f32_e32 v149, 0xbeb58ec6, v133
	v_mul_f32_e32 v182, 0xbf29c268, v112
	v_add_f32_e32 v149, v149, v148
	v_fma_f32 v148, v100, s18, -v182
	v_mul_f32_e32 v183, 0x3f7e222b, v113
	v_add_f32_e32 v148, v44, v148
	v_fma_f32 v150, v101, s7, -v183
	;; [unrolled: 3-line block ×4, first 2 shown]
	v_mul_f32_e32 v186, 0x3eedf032, v122
	v_add_f32_e32 v47, v47, v45
	v_add_f32_e32 v148, v150, v148
	v_fma_f32 v150, v108, s19, -v186
	v_mul_f32_e32 v187, 0xbf6f5d39, v127
	v_add_f32_e32 v47, v49, v47
	v_add_f32_e32 v148, v150, v148
	v_fma_f32 v150, v110, s16, -v187
	v_mul_f32_e32 v188, 0xbf788fa5, v114
	v_add_f32_e32 v47, v51, v47
	v_add_f32_e32 v148, v150, v148
	v_mov_b32_e32 v150, v188
	v_mul_f32_e32 v189, 0x3f62ad3f, v117
	v_add_f32_e32 v37, v37, v47
	v_fmac_f32_e32 v150, 0x3e750f2a, v102
	v_mov_b32_e32 v151, v189
	v_add_f32_e32 v37, v39, v37
	v_add_f32_e32 v150, v45, v150
	v_fmac_f32_e32 v151, 0xbeedf032, v103
	v_mul_f32_e32 v190, 0xbf3f9e67, v120
	v_add_f32_e32 v37, v53, v37
	v_add_f32_e32 v150, v151, v150
	v_mov_b32_e32 v151, v190
	v_add_f32_e32 v37, v55, v37
	v_fmac_f32_e32 v151, 0x3f29c268, v106
	v_mul_f32_e32 v191, 0x3f116cb1, v123
	v_add_f32_e32 v37, v41, v37
	v_mul_f32_e32 v159, 0xbf7e222b, v102
	v_add_f32_e32 v150, v151, v150
	v_mov_b32_e32 v151, v191
	v_add_f32_e32 v37, v43, v37
	v_mul_f32_e32 v163, 0xbe750f2a, v103
	v_fmac_f32_e32 v151, 0xbf52af12, v107
	v_mul_f32_e32 v192, 0xbeb58ec6, v129
	v_sub_f32_e32 v128, v128, v159
	v_add_f32_e32 v33, v33, v37
	v_mul_f32_e32 v167, 0x3f6f5d39, v106
	v_add_f32_e32 v150, v151, v150
	v_mov_b32_e32 v151, v192
	v_add_f32_e32 v128, v45, v128
	v_sub_f32_e32 v134, v134, v163
	v_add_f32_e32 v33, v35, v33
	v_add_f32_e32 v35, v46, v44
	v_mul_f32_e32 v171, 0x3eedf032, v107
	v_fmac_f32_e32 v151, 0x3f6f5d39, v109
	v_mul_f32_e32 v193, 0x3df6dbef, v133
	v_add_f32_e32 v128, v134, v128
	v_sub_f32_e32 v134, v138, v167
	v_add_f32_e32 v35, v48, v35
	v_mul_f32_e32 v175, 0xbf52af12, v109
	v_add_f32_e32 v150, v151, v150
	v_mov_b32_e32 v151, v193
	v_fma_f32 v152, v114, s18, -v152
	v_add_f32_e32 v128, v134, v128
	v_sub_f32_e32 v134, v142, v171
	v_add_f32_e32 v35, v50, v35
	v_mul_f32_e32 v157, 0xbf52af12, v102
	v_mul_f32_e32 v158, 0x3df6dbef, v100
	;; [unrolled: 1-line block ×3, first 2 shown]
	v_fmac_f32_e32 v151, 0xbf7e222b, v111
	v_mul_f32_e32 v194, 0xbe750f2a, v112
	v_add_f32_e32 v152, v45, v152
	v_fma_f32 v153, v117, s7, -v153
	v_add_f32_e32 v128, v134, v128
	v_sub_f32_e32 v134, v145, v175
	v_add_f32_e32 v35, v36, v35
	v_mul_f32_e32 v161, 0xbf6f5d39, v103
	v_mul_f32_e32 v162, 0xbf788fa5, v101
	v_add_f32_e32 v151, v151, v150
	v_mov_b32_e32 v150, v194
	v_mul_f32_e32 v195, 0x3eedf032, v113
	v_add_f32_e32 v152, v153, v152
	v_fma_f32 v153, v120, s6, -v154
	v_add_f32_e32 v128, v134, v128
	v_sub_f32_e32 v134, v147, v179
	v_add_f32_e32 v125, v158, v125
	v_sub_f32_e32 v119, v119, v157
	v_add_f32_e32 v35, v38, v35
	v_mul_f32_e32 v165, 0xbe750f2a, v106
	v_mul_f32_e32 v166, 0xbeb58ec6, v104
	v_fmac_f32_e32 v150, 0xbf788fa5, v100
	v_mov_b32_e32 v196, v195
	v_add_f32_e32 v152, v153, v152
	v_fma_f32 v153, v123, s17, -v155
	v_add_f32_e32 v145, v134, v128
	v_add_f32_e32 v125, v44, v125
	;; [unrolled: 1-line block ×4, first 2 shown]
	v_sub_f32_e32 v124, v124, v161
	v_add_f32_e32 v35, v52, v35
	v_mul_f32_e32 v169, 0x3f29c268, v107
	v_mul_f32_e32 v170, 0x3f62ad3f, v105
	v_add_f32_e32 v150, v44, v150
	v_fmac_f32_e32 v196, 0x3f62ad3f, v101
	v_add_f32_e32 v152, v153, v152
	v_fma_f32 v153, v129, s19, -v180
	v_mul_f32_e32 v180, 0xbeb58ec6, v114
	v_add_f32_e32 v125, v128, v125
	v_add_f32_e32 v128, v166, v136
	;; [unrolled: 1-line block ×3, first 2 shown]
	v_sub_f32_e32 v124, v130, v165
	v_add_f32_e32 v35, v54, v35
	v_mul_f32_e32 v173, 0x3f7e222b, v109
	v_mul_f32_e32 v174, 0x3f116cb1, v108
	v_add_f32_e32 v150, v196, v150
	v_mul_f32_e32 v196, 0xbf29c268, v115
	v_add_f32_e32 v152, v153, v152
	v_fma_f32 v153, v133, s16, -v181
	v_mov_b32_e32 v154, v180
	v_mul_f32_e32 v181, 0xbf3f9e67, v117
	v_add_f32_e32 v125, v128, v125
	v_add_f32_e32 v128, v170, v140
	;; [unrolled: 1-line block ×3, first 2 shown]
	v_sub_f32_e32 v124, v135, v169
	v_add_f32_e32 v35, v40, v35
	v_mul_f32_e32 v156, 0x3f116cb1, v100
	v_mul_f32_e32 v177, 0x3eedf032, v111
	;; [unrolled: 1-line block ×3, first 2 shown]
	v_mov_b32_e32 v197, v196
	v_fmac_f32_e32 v182, 0xbf3f9e67, v100
	v_fmac_f32_e32 v154, 0x3f6f5d39, v102
	v_mov_b32_e32 v155, v181
	v_add_f32_e32 v125, v128, v125
	v_add_f32_e32 v128, v174, v144
	;; [unrolled: 1-line block ×3, first 2 shown]
	v_sub_f32_e32 v124, v139, v173
	v_add_f32_e32 v35, v42, v35
	v_mul_f32_e32 v160, 0xbeb58ec6, v101
	v_fmac_f32_e32 v197, 0xbf3f9e67, v104
	v_add_f32_e32 v153, v153, v152
	v_add_f32_e32 v152, v44, v182
	;; [unrolled: 1-line block ×3, first 2 shown]
	v_fmac_f32_e32 v155, 0xbf29c268, v103
	v_mul_f32_e32 v182, 0x3f62ad3f, v120
	v_add_f32_e32 v125, v128, v125
	v_add_f32_e32 v128, v178, v146
	;; [unrolled: 1-line block ×3, first 2 shown]
	v_sub_f32_e32 v124, v143, v177
	v_add_f32_e32 v116, v156, v116
	v_add_f32_e32 v32, v32, v35
	v_fmac_f32_e32 v188, 0xbe750f2a, v102
	v_mul_f32_e32 v164, 0xbf788fa5, v104
	v_add_f32_e32 v150, v197, v150
	v_mul_f32_e32 v197, 0x3f52af12, v118
	v_fmac_f32_e32 v183, 0x3df6dbef, v101
	v_add_f32_e32 v154, v155, v154
	v_mov_b32_e32 v155, v182
	v_add_f32_e32 v144, v128, v125
	v_add_f32_e32 v125, v124, v119
	;; [unrolled: 1-line block ×6, first 2 shown]
	v_fmac_f32_e32 v189, 0x3eedf032, v103
	v_mul_f32_e32 v168, 0xbf3f9e67, v105
	v_mov_b32_e32 v198, v197
	v_add_f32_e32 v152, v183, v152
	v_fmac_f32_e32 v155, 0xbeedf032, v106
	v_mul_f32_e32 v183, 0x3df6dbef, v123
	v_add_f32_e32 v116, v119, v116
	v_add_f32_e32 v119, v164, v126
	;; [unrolled: 1-line block ×3, first 2 shown]
	v_fmac_f32_e32 v190, 0xbf29c268, v106
	v_mul_f32_e32 v172, 0x3df6dbef, v108
	v_fmac_f32_e32 v198, 0x3f116cb1, v105
	v_fmac_f32_e32 v184, 0x3f116cb1, v104
	v_add_f32_e32 v154, v155, v154
	v_mov_b32_e32 v155, v183
	v_add_f32_e32 v116, v119, v116
	v_add_f32_e32 v119, v168, v132
	;; [unrolled: 1-line block ×3, first 2 shown]
	v_fmac_f32_e32 v191, 0x3f52af12, v107
	v_mul_f32_e32 v176, 0x3f62ad3f, v110
	v_add_f32_e32 v150, v198, v150
	v_mul_f32_e32 v198, 0xbf6f5d39, v122
	v_add_f32_e32 v152, v184, v152
	v_fmac_f32_e32 v155, 0x3f7e222b, v107
	v_mul_f32_e32 v184, 0xbf788fa5, v129
	v_add_f32_e32 v116, v119, v116
	v_add_f32_e32 v119, v172, v137
	;; [unrolled: 1-line block ×3, first 2 shown]
	v_fmac_f32_e32 v192, 0xbf6f5d39, v109
	v_mov_b32_e32 v199, v198
	v_fmac_f32_e32 v185, 0xbf788fa5, v105
	v_add_f32_e32 v154, v155, v154
	v_mov_b32_e32 v155, v184
	v_add_f32_e32 v116, v119, v116
	v_add_f32_e32 v119, v176, v141
	;; [unrolled: 1-line block ×3, first 2 shown]
	v_fmac_f32_e32 v193, 0x3f7e222b, v111
	v_fmac_f32_e32 v199, 0xbeb58ec6, v108
	v_add_f32_e32 v152, v185, v152
	v_fmac_f32_e32 v155, 0xbe750f2a, v109
	v_mul_f32_e32 v185, 0x3f116cb1, v133
	v_add_f32_e32 v124, v119, v116
	v_mul_f32_e32 v116, 0x3f62ad3f, v114
	v_add_f32_e32 v35, v193, v34
	v_fma_f32 v34, v100, s17, -v194
	v_add_f32_e32 v150, v199, v150
	v_mul_f32_e32 v199, 0x3f7e222b, v127
	v_fmac_f32_e32 v186, 0x3f62ad3f, v108
	v_add_f32_e32 v154, v155, v154
	v_mov_b32_e32 v155, v185
	v_mov_b32_e32 v114, v116
	v_mul_f32_e32 v117, 0x3f116cb1, v117
	v_add_f32_e32 v34, v44, v34
	v_fma_f32 v36, v101, s19, -v195
	v_mov_b32_e32 v200, v199
	v_add_f32_e32 v152, v186, v152
	v_fmac_f32_e32 v187, 0xbeb58ec6, v110
	v_fmac_f32_e32 v155, 0xbf52af12, v111
	v_mul_f32_e32 v186, 0xbf6f5d39, v112
	v_fmac_f32_e32 v114, 0x3eedf032, v102
	v_mov_b32_e32 v119, v117
	v_add_f32_e32 v34, v36, v34
	v_fma_f32 v36, v104, s18, -v196
	v_fmac_f32_e32 v200, 0x3df6dbef, v110
	v_add_f32_e32 v152, v187, v152
	v_add_f32_e32 v155, v155, v154
	v_mov_b32_e32 v154, v186
	v_mul_f32_e32 v187, 0x3f29c268, v113
	v_add_f32_e32 v114, v45, v114
	v_fmac_f32_e32 v119, 0x3f52af12, v103
	v_add_f32_e32 v34, v36, v34
	v_fma_f32 v36, v105, s6, -v197
	v_add_f32_e32 v150, v200, v150
	v_fmac_f32_e32 v154, 0xbeb58ec6, v100
	v_mov_b32_e32 v200, v187
	v_add_f32_e32 v114, v119, v114
	v_mul_f32_e32 v119, 0x3df6dbef, v120
	v_add_f32_e32 v34, v36, v34
	v_fma_f32 v36, v108, s16, -v198
	v_add_f32_e32 v154, v44, v154
	v_fmac_f32_e32 v200, 0xbf3f9e67, v101
	v_mov_b32_e32 v120, v119
	v_add_f32_e32 v34, v36, v34
	v_fma_f32 v36, v110, s7, -v199
	v_fmac_f32_e32 v180, 0xbf6f5d39, v102
	v_add_f32_e32 v154, v200, v154
	v_mul_f32_e32 v200, 0x3eedf032, v115
	v_fmac_f32_e32 v120, 0x3f7e222b, v106
	v_add_f32_e32 v34, v36, v34
	v_add_f32_e32 v36, v45, v180
	v_fmac_f32_e32 v181, 0x3f29c268, v103
	v_mov_b32_e32 v201, v200
	v_add_f32_e32 v114, v120, v114
	v_mul_f32_e32 v120, 0xbeb58ec6, v123
	v_add_f32_e32 v36, v181, v36
	v_fmac_f32_e32 v182, 0x3eedf032, v106
	v_fmac_f32_e32 v201, 0x3f62ad3f, v104
	v_mov_b32_e32 v121, v120
	v_add_f32_e32 v36, v182, v36
	v_fmac_f32_e32 v183, 0xbf7e222b, v107
	v_add_f32_e32 v154, v201, v154
	v_mul_f32_e32 v201, 0xbf7e222b, v118
	v_fmac_f32_e32 v121, 0x3f6f5d39, v107
	v_add_f32_e32 v36, v183, v36
	v_fmac_f32_e32 v184, 0x3e750f2a, v109
	v_mov_b32_e32 v202, v201
	v_add_f32_e32 v114, v121, v114
	v_mul_f32_e32 v121, 0xbf3f9e67, v129
	v_add_f32_e32 v36, v184, v36
	v_fmac_f32_e32 v185, 0x3f52af12, v111
	v_fmac_f32_e32 v202, 0x3df6dbef, v105
	v_mov_b32_e32 v123, v121
	v_add_f32_e32 v37, v185, v36
	v_fma_f32 v36, v100, s16, -v186
	v_add_f32_e32 v154, v202, v154
	v_mul_f32_e32 v202, 0x3e750f2a, v122
	v_fmac_f32_e32 v123, 0x3f29c268, v109
	v_add_f32_e32 v36, v44, v36
	v_fma_f32 v38, v101, s18, -v187
	v_mov_b32_e32 v203, v202
	v_add_f32_e32 v114, v123, v114
	v_mul_f32_e32 v123, 0xbf788fa5, v133
	v_add_f32_e32 v36, v38, v36
	v_fma_f32 v38, v104, s19, -v200
	v_fmac_f32_e32 v203, 0xbf788fa5, v108
	v_mov_b32_e32 v126, v123
	v_add_f32_e32 v36, v38, v36
	v_fma_f32 v38, v105, s7, -v201
	v_add_f32_e32 v154, v203, v154
	v_mul_f32_e32 v203, 0x3f52af12, v127
	v_fmac_f32_e32 v126, 0x3e750f2a, v111
	v_mul_f32_e32 v112, 0xbeedf032, v112
	v_add_f32_e32 v36, v38, v36
	v_fma_f32 v38, v108, s17, -v202
	v_add_f32_e32 v114, v126, v114
	v_mov_b32_e32 v126, v112
	v_mul_f32_e32 v128, 0xbf52af12, v113
	v_add_f32_e32 v36, v38, v36
	v_fma_f32 v38, v110, s6, -v203
	v_fmac_f32_e32 v116, 0xbeedf032, v102
	v_fmac_f32_e32 v126, 0x3f62ad3f, v100
	v_mov_b32_e32 v113, v128
	v_add_f32_e32 v36, v38, v36
	v_add_f32_e32 v38, v45, v116
	v_fmac_f32_e32 v117, 0xbf52af12, v103
	v_add_f32_e32 v126, v44, v126
	v_fmac_f32_e32 v113, 0x3f116cb1, v101
	v_mul_f32_e32 v115, 0xbf7e222b, v115
	v_add_f32_e32 v38, v117, v38
	v_fmac_f32_e32 v119, 0xbf7e222b, v106
	v_add_f32_e32 v113, v113, v126
	v_mov_b32_e32 v126, v115
	v_add_f32_e32 v38, v119, v38
	v_fmac_f32_e32 v120, 0xbf6f5d39, v107
	v_fmac_f32_e32 v126, 0x3df6dbef, v104
	v_mul_f32_e32 v118, 0xbf6f5d39, v118
	v_add_f32_e32 v38, v120, v38
	v_fmac_f32_e32 v121, 0xbf29c268, v109
	v_add_f32_e32 v113, v126, v113
	v_mov_b32_e32 v126, v118
	v_add_f32_e32 v38, v121, v38
	v_fmac_f32_e32 v123, 0xbe750f2a, v111
	v_fmac_f32_e32 v126, 0xbeb58ec6, v105
	v_mul_f32_e32 v122, 0xbf29c268, v122
	v_add_f32_e32 v39, v123, v38
	v_fma_f32 v38, v100, s19, -v112
	v_add_f32_e32 v113, v126, v113
	v_mov_b32_e32 v126, v122
	v_add_f32_e32 v38, v44, v38
	v_fma_f32 v40, v101, s6, -v128
	v_fmac_f32_e32 v126, 0xbf3f9e67, v108
	v_add_f32_e32 v38, v40, v38
	v_fma_f32 v40, v104, s7, -v115
	v_add_f32_e32 v113, v126, v113
	v_mul_f32_e32 v126, 0xbe750f2a, v127
	v_add_f32_e32 v38, v40, v38
	v_fma_f32 v40, v105, s16, -v118
	v_mov_b32_e32 v127, v126
	v_add_f32_e32 v38, v40, v38
	v_fma_f32 v40, v108, s18, -v122
	v_mov_b32_e32 v204, v203
	v_fmac_f32_e32 v127, 0xbf788fa5, v110
	v_add_f32_e32 v38, v40, v38
	v_fma_f32 v40, v110, s17, -v126
	v_fmac_f32_e32 v204, 0x3f116cb1, v110
	v_add_f32_e32 v113, v127, v113
	v_add_f32_e32 v33, v58, v33
	v_add_f32_e32 v32, v57, v32
	v_add_f32_e32 v38, v40, v38
	v_lshlrev_b32_e32 v40, 3, v88
	v_add_f32_e32 v154, v204, v154
	ds_write2_b64 v40, v[32:33], v[113:114] offset1:1
	ds_write2_b64 v40, v[124:125], v[144:145] offset0:2 offset1:3
	ds_write2_b64 v40, v[154:155], v[152:153] offset0:4 offset1:5
	;; [unrolled: 1-line block ×5, first 2 shown]
	ds_write_b64 v40, v[38:39] offset:96
.LBB0_17:
	s_or_b64 exec, exec, s[4:5]
	v_add_u32_e32 v52, 0x1200, v87
	s_waitcnt lgkmcnt(0)
	s_barrier
	ds_read2_b64 v[36:39], v52 offset0:48 offset1:204
	v_add_u32_e32 v53, 0x1c00, v87
	ds_read2_b64 v[40:43], v53 offset0:40 offset1:196
	v_add_u32_e32 v55, 0x2400, v87
	ds_read2_b64 v[48:51], v55 offset0:96 offset1:252
	s_waitcnt lgkmcnt(2)
	v_mul_f32_e32 v57, v64, v39
	v_add_u32_e32 v54, 0x800, v87
	v_fmac_f32_e32 v57, v63, v38
	v_mul_f32_e32 v38, v64, v38
	ds_read2_b64 v[32:35], v87 offset1:156
	ds_read2_b64 v[44:47], v54 offset0:56 offset1:212
	v_fma_f32 v39, v63, v39, -v38
	s_waitcnt lgkmcnt(3)
	v_mul_f32_e32 v38, v62, v40
	v_mul_f32_e32 v58, v62, v41
	v_fma_f32 v41, v61, v41, -v38
	v_mul_f32_e32 v38, v60, v42
	v_fmac_f32_e32 v58, v61, v40
	v_mul_f32_e32 v61, v60, v43
	v_fma_f32 v43, v59, v43, -v38
	s_waitcnt lgkmcnt(2)
	v_mul_f32_e32 v38, v66, v48
	v_fmac_f32_e32 v61, v59, v42
	v_mul_f32_e32 v59, v66, v49
	v_fma_f32 v49, v65, v49, -v38
	v_mul_f32_e32 v60, v68, v51
	v_mul_f32_e32 v38, v68, v50
	v_fmac_f32_e32 v59, v65, v48
	v_fmac_f32_e32 v60, v67, v50
	v_fma_f32 v51, v67, v51, -v38
	s_waitcnt lgkmcnt(1)
	v_sub_f32_e32 v38, v32, v57
	v_sub_f32_e32 v39, v33, v39
	;; [unrolled: 1-line block ×4, first 2 shown]
	s_waitcnt lgkmcnt(0)
	v_sub_f32_e32 v42, v44, v61
	v_sub_f32_e32 v43, v45, v43
	;; [unrolled: 1-line block ×6, first 2 shown]
	v_fma_f32 v32, v32, 2.0, -v38
	v_fma_f32 v33, v33, 2.0, -v39
	;; [unrolled: 1-line block ×10, first 2 shown]
	s_barrier
	ds_write2_b64 v89, v[32:33], v[38:39] offset1:13
	ds_write2_b64 v90, v[34:35], v[40:41] offset1:13
	;; [unrolled: 1-line block ×5, first 2 shown]
	s_waitcnt lgkmcnt(0)
	s_barrier
	ds_read2_b64 v[32:35], v52 offset0:48 offset1:204
	ds_read2_b64 v[36:39], v87 offset1:156
	ds_read2_b64 v[40:43], v53 offset0:40 offset1:196
	ds_read2_b64 v[44:47], v54 offset0:56 offset1:212
	;; [unrolled: 1-line block ×3, first 2 shown]
	s_waitcnt lgkmcnt(4)
	v_mul_f32_e32 v57, v78, v35
	v_fmac_f32_e32 v57, v77, v34
	v_mul_f32_e32 v34, v78, v34
	v_fma_f32 v35, v77, v35, -v34
	s_waitcnt lgkmcnt(2)
	v_mul_f32_e32 v34, v74, v40
	v_mul_f32_e32 v58, v74, v41
	v_fma_f32 v41, v73, v41, -v34
	v_mul_f32_e32 v34, v72, v42
	v_mul_f32_e32 v59, v72, v43
	v_fma_f32 v43, v71, v43, -v34
	s_waitcnt lgkmcnt(0)
	v_mul_f32_e32 v34, v70, v48
	v_mul_f32_e32 v60, v70, v49
	v_fma_f32 v49, v69, v49, -v34
	v_mul_f32_e32 v61, v76, v51
	v_mul_f32_e32 v34, v76, v50
	v_fmac_f32_e32 v58, v73, v40
	v_fmac_f32_e32 v59, v71, v42
	;; [unrolled: 1-line block ×4, first 2 shown]
	v_fma_f32 v51, v75, v51, -v34
	v_sub_f32_e32 v34, v36, v57
	v_sub_f32_e32 v35, v37, v35
	;; [unrolled: 1-line block ×10, first 2 shown]
	v_fma_f32 v36, v36, 2.0, -v34
	v_fma_f32 v37, v37, 2.0, -v35
	;; [unrolled: 1-line block ×10, first 2 shown]
	s_barrier
	ds_write2_b64 v94, v[36:37], v[34:35] offset1:26
	ds_write2_b64 v95, v[38:39], v[40:41] offset1:26
	;; [unrolled: 1-line block ×5, first 2 shown]
	s_waitcnt lgkmcnt(0)
	s_barrier
	ds_read2_b64 v[32:35], v87 offset1:156
	ds_read2_b64 v[36:39], v54 offset0:56 offset1:212
	ds_read2_b64 v[40:43], v52 offset0:48 offset1:204
	;; [unrolled: 1-line block ×4, first 2 shown]
	s_waitcnt lgkmcnt(4)
	v_mul_f32_e32 v52, v17, v35
	v_mul_f32_e32 v17, v17, v34
	v_fmac_f32_e32 v52, v16, v34
	v_fma_f32 v16, v16, v35, -v17
	s_waitcnt lgkmcnt(3)
	v_mul_f32_e32 v17, v19, v37
	v_mul_f32_e32 v19, v19, v36
	v_fmac_f32_e32 v17, v18, v36
	v_fma_f32 v18, v18, v37, -v19
	v_mul_f32_e32 v19, v13, v39
	v_mul_f32_e32 v13, v13, v38
	v_fmac_f32_e32 v19, v12, v38
	v_fma_f32 v12, v12, v39, -v13
	s_waitcnt lgkmcnt(2)
	v_mul_f32_e32 v13, v15, v41
	v_mul_f32_e32 v15, v15, v40
	v_fmac_f32_e32 v13, v14, v40
	v_fma_f32 v14, v14, v41, -v15
	;; [unrolled: 9-line block ×3, first 2 shown]
	v_mul_f32_e32 v7, v1, v47
	v_mul_f32_e32 v1, v1, v46
	v_fmac_f32_e32 v7, v0, v46
	v_fma_f32 v0, v0, v47, -v1
	s_waitcnt lgkmcnt(0)
	v_mul_f32_e32 v1, v3, v49
	v_mul_f32_e32 v3, v3, v48
	v_add_f32_e32 v36, v13, v5
	v_fmac_f32_e32 v1, v2, v48
	v_fma_f32 v2, v2, v49, -v3
	v_fma_f32 v36, -0.5, v36, v32
	v_sub_f32_e32 v37, v18, v2
	v_mov_b32_e32 v38, v36
	v_fmac_f32_e32 v38, 0xbf737871, v37
	v_sub_f32_e32 v39, v14, v6
	v_sub_f32_e32 v40, v17, v13
	;; [unrolled: 1-line block ×3, first 2 shown]
	v_fmac_f32_e32 v36, 0x3f737871, v37
	v_fmac_f32_e32 v38, 0xbf167918, v39
	v_add_f32_e32 v40, v40, v41
	v_fmac_f32_e32 v36, 0x3f167918, v39
	v_fmac_f32_e32 v38, 0x3e9e377a, v40
	;; [unrolled: 1-line block ×3, first 2 shown]
	v_add_f32_e32 v40, v17, v1
	v_add_f32_e32 v35, v32, v17
	v_fma_f32 v32, -0.5, v40, v32
	v_mov_b32_e32 v40, v32
	v_add_f32_e32 v35, v35, v13
	v_fmac_f32_e32 v40, 0x3f737871, v39
	v_fmac_f32_e32 v32, 0xbf737871, v39
	v_add_f32_e32 v39, v14, v6
	v_add_f32_e32 v35, v35, v5
	v_sub_f32_e32 v41, v13, v17
	v_sub_f32_e32 v42, v5, v1
	v_fma_f32 v39, -0.5, v39, v33
	v_add_f32_e32 v35, v35, v1
	v_fmac_f32_e32 v40, 0xbf167918, v37
	v_add_f32_e32 v41, v41, v42
	v_fmac_f32_e32 v32, 0x3f167918, v37
	v_sub_f32_e32 v1, v17, v1
	v_mov_b32_e32 v17, v39
	v_fmac_f32_e32 v40, 0x3e9e377a, v41
	v_fmac_f32_e32 v32, 0x3e9e377a, v41
	;; [unrolled: 1-line block ×3, first 2 shown]
	v_sub_f32_e32 v5, v13, v5
	v_sub_f32_e32 v13, v18, v14
	;; [unrolled: 1-line block ×3, first 2 shown]
	v_fmac_f32_e32 v39, 0xbf737871, v1
	v_fmac_f32_e32 v17, 0x3f167918, v5
	v_add_f32_e32 v13, v13, v41
	v_fmac_f32_e32 v39, 0xbf167918, v5
	v_fmac_f32_e32 v17, 0x3e9e377a, v13
	;; [unrolled: 1-line block ×3, first 2 shown]
	v_add_f32_e32 v13, v18, v2
	v_add_f32_e32 v37, v33, v18
	v_fma_f32 v33, -0.5, v13, v33
	v_mov_b32_e32 v41, v33
	v_fmac_f32_e32 v41, 0xbf737871, v5
	v_fmac_f32_e32 v33, 0x3f737871, v5
	v_fmac_f32_e32 v41, 0x3f167918, v1
	v_fmac_f32_e32 v33, 0xbf167918, v1
	v_add_f32_e32 v1, v52, v19
	v_mul_f32_e32 v3, v80, v51
	v_add_f32_e32 v37, v37, v14
	v_add_f32_e32 v1, v1, v15
	v_fmac_f32_e32 v3, v79, v50
	v_add_f32_e32 v37, v37, v6
	v_add_f32_e32 v1, v1, v7
	v_mul_f32_e32 v34, v80, v50
	v_add_f32_e32 v37, v37, v2
	v_sub_f32_e32 v13, v14, v18
	v_sub_f32_e32 v2, v6, v2
	v_add_f32_e32 v14, v1, v3
	v_add_f32_e32 v1, v15, v7
	v_fma_f32 v34, v79, v51, -v34
	v_add_f32_e32 v2, v13, v2
	v_fma_f32 v13, -0.5, v1, v52
	v_sub_f32_e32 v1, v12, v34
	v_mov_b32_e32 v5, v13
	v_fmac_f32_e32 v41, 0x3e9e377a, v2
	v_fmac_f32_e32 v33, 0x3e9e377a, v2
	v_fmac_f32_e32 v5, 0xbf737871, v1
	v_sub_f32_e32 v2, v4, v0
	v_sub_f32_e32 v6, v19, v15
	;; [unrolled: 1-line block ×3, first 2 shown]
	v_fmac_f32_e32 v13, 0x3f737871, v1
	v_fmac_f32_e32 v5, 0xbf167918, v2
	v_add_f32_e32 v6, v6, v18
	v_fmac_f32_e32 v13, 0x3f167918, v2
	v_fmac_f32_e32 v5, 0x3e9e377a, v6
	;; [unrolled: 1-line block ×3, first 2 shown]
	v_add_f32_e32 v6, v19, v3
	v_fmac_f32_e32 v52, -0.5, v6
	v_mov_b32_e32 v18, v52
	v_fmac_f32_e32 v18, 0x3f737871, v2
	v_fmac_f32_e32 v52, 0xbf737871, v2
	;; [unrolled: 1-line block ×4, first 2 shown]
	v_add_f32_e32 v1, v16, v12
	v_add_f32_e32 v1, v1, v4
	v_sub_f32_e32 v6, v15, v19
	v_sub_f32_e32 v42, v7, v3
	v_add_f32_e32 v1, v1, v0
	v_add_f32_e32 v6, v6, v42
	;; [unrolled: 1-line block ×4, first 2 shown]
	v_fma_f32 v43, -0.5, v1, v16
	v_sub_f32_e32 v1, v19, v3
	v_mov_b32_e32 v3, v43
	v_fmac_f32_e32 v18, 0x3e9e377a, v6
	v_fmac_f32_e32 v52, 0x3e9e377a, v6
	;; [unrolled: 1-line block ×3, first 2 shown]
	v_sub_f32_e32 v2, v15, v7
	v_sub_f32_e32 v6, v12, v4
	;; [unrolled: 1-line block ×3, first 2 shown]
	v_fmac_f32_e32 v43, 0xbf737871, v1
	v_fmac_f32_e32 v3, 0x3f167918, v2
	v_add_f32_e32 v6, v6, v7
	v_fmac_f32_e32 v43, 0xbf167918, v2
	v_fmac_f32_e32 v3, 0x3e9e377a, v6
	;; [unrolled: 1-line block ×3, first 2 shown]
	v_add_f32_e32 v6, v12, v34
	v_fmac_f32_e32 v16, -0.5, v6
	v_mov_b32_e32 v7, v16
	v_fmac_f32_e32 v7, 0xbf737871, v2
	v_sub_f32_e32 v4, v4, v12
	v_sub_f32_e32 v0, v0, v34
	v_fmac_f32_e32 v16, 0x3f737871, v2
	v_fmac_f32_e32 v7, 0x3f167918, v1
	v_add_f32_e32 v0, v4, v0
	v_fmac_f32_e32 v16, 0xbf167918, v1
	v_fmac_f32_e32 v7, 0x3e9e377a, v0
	;; [unrolled: 1-line block ×3, first 2 shown]
	v_mul_f32_e32 v15, 0xbf167918, v3
	v_mul_f32_e32 v45, 0x3f4f1bbd, v3
	v_fmac_f32_e32 v15, 0x3f4f1bbd, v5
	v_mul_f32_e32 v19, 0xbf737871, v7
	v_mul_f32_e32 v34, 0xbf737871, v16
	;; [unrolled: 1-line block ×3, first 2 shown]
	v_fmac_f32_e32 v45, 0x3f167918, v5
	v_mul_f32_e32 v46, 0x3e9e377a, v7
	v_mul_f32_e32 v47, 0xbe9e377a, v16
	;; [unrolled: 1-line block ×3, first 2 shown]
	v_add_f32_e32 v0, v35, v14
	v_add_f32_e32 v2, v38, v15
	v_fmac_f32_e32 v19, 0x3e9e377a, v18
	v_fmac_f32_e32 v34, 0xbe9e377a, v52
	;; [unrolled: 1-line block ×3, first 2 shown]
	v_add_f32_e32 v1, v37, v42
	v_add_f32_e32 v3, v17, v45
	v_fmac_f32_e32 v46, 0x3f737871, v18
	v_fmac_f32_e32 v47, 0x3f737871, v52
	;; [unrolled: 1-line block ×3, first 2 shown]
	v_add_f32_e32 v4, v40, v19
	v_add_f32_e32 v6, v32, v34
	;; [unrolled: 1-line block ×6, first 2 shown]
	v_sub_f32_e32 v14, v35, v14
	v_sub_f32_e32 v16, v38, v15
	;; [unrolled: 1-line block ×3, first 2 shown]
	s_barrier
	ds_write2_b64 v99, v[0:1], v[2:3] offset1:52
	ds_write2_b64 v99, v[4:5], v[6:7] offset0:104 offset1:156
	v_add_u32_e32 v0, 0x400, v99
	v_sub_f32_e32 v18, v40, v19
	v_sub_f32_e32 v34, v32, v34
	;; [unrolled: 1-line block ×6, first 2 shown]
	ds_write2_b64 v0, v[12:13], v[14:15] offset0:80 offset1:132
	v_add_u32_e32 v0, 0x800, v99
	v_add_u32_e32 v36, 0x900, v87
	;; [unrolled: 1-line block ×4, first 2 shown]
	v_sub_f32_e32 v33, v39, v43
	ds_write2_b64 v0, v[16:17], v[18:19] offset0:56 offset1:108
	ds_write2_b64 v0, v[34:35], v[32:33] offset0:160 offset1:212
	s_waitcnt lgkmcnt(0)
	s_barrier
	ds_read2_b64 v[4:7], v87 offset1:156
	ds_read2_b64 v[0:3], v36 offset0:24 offset1:232
	ds_read2_b64 v[16:19], v38 offset0:16 offset1:172
	;; [unrolled: 1-line block ×3, first 2 shown]
	ds_read_b64 v[34:35], v87 offset:10816
	s_and_saveexec_b64 s[4:5], s[2:3]
	s_cbranch_execz .LBB0_19
; %bb.18:
	ds_read_b64 v[32:33], v87 offset:3744
	ds_read_b64 v[83:84], v87 offset:7904
	;; [unrolled: 1-line block ×3, first 2 shown]
.LBB0_19:
	s_or_b64 exec, exec, s[4:5]
	s_waitcnt lgkmcnt(3)
	v_mul_f32_e32 v39, v21, v3
	v_fmac_f32_e32 v39, v20, v2
	v_mul_f32_e32 v2, v21, v2
	v_fma_f32 v20, v20, v3, -v2
	s_waitcnt lgkmcnt(2)
	v_mul_f32_e32 v21, v23, v17
	v_mul_f32_e32 v2, v23, v16
	v_fmac_f32_e32 v21, v22, v16
	v_fma_f32 v16, v22, v17, -v2
	s_waitcnt lgkmcnt(1)
	v_mul_f32_e32 v2, v25, v12
	v_fma_f32 v22, v24, v13, -v2
	v_mul_f32_e32 v23, v27, v19
	v_mul_f32_e32 v2, v27, v18
	v_fmac_f32_e32 v23, v26, v18
	v_fma_f32 v18, v26, v19, -v2
	v_mul_f32_e32 v2, v29, v14
	v_mul_f32_e32 v17, v25, v13
	v_fma_f32 v25, v28, v15, -v2
	s_waitcnt lgkmcnt(0)
	v_mul_f32_e32 v2, v31, v34
	v_add_f32_e32 v3, v39, v21
	v_fma_f32 v27, v30, v35, -v2
	v_add_f32_e32 v2, v4, v39
	v_fma_f32 v4, -0.5, v3, v4
	v_fmac_f32_e32 v17, v24, v12
	v_sub_f32_e32 v3, v20, v16
	v_mov_b32_e32 v12, v4
	v_add_f32_e32 v13, v20, v16
	v_mul_f32_e32 v24, v29, v15
	v_fmac_f32_e32 v12, 0xbf5db3d7, v3
	v_fmac_f32_e32 v4, 0x3f5db3d7, v3
	v_add_f32_e32 v3, v5, v20
	v_fma_f32 v5, -0.5, v13, v5
	v_fmac_f32_e32 v24, v28, v14
	v_sub_f32_e32 v14, v39, v21
	v_mov_b32_e32 v13, v5
	v_add_f32_e32 v15, v17, v23
	v_fmac_f32_e32 v13, 0x3f5db3d7, v14
	v_fmac_f32_e32 v5, 0xbf5db3d7, v14
	v_add_f32_e32 v14, v6, v17
	v_fma_f32 v6, -0.5, v15, v6
	v_add_f32_e32 v3, v3, v16
	v_sub_f32_e32 v15, v22, v18
	v_mov_b32_e32 v16, v6
	v_fmac_f32_e32 v16, 0xbf5db3d7, v15
	v_fmac_f32_e32 v6, 0x3f5db3d7, v15
	v_add_f32_e32 v15, v7, v22
	v_mul_f32_e32 v26, v31, v35
	v_add_f32_e32 v15, v15, v18
	v_add_f32_e32 v18, v22, v18
	v_fmac_f32_e32 v26, v30, v34
	v_fmac_f32_e32 v7, -0.5, v18
	v_sub_f32_e32 v18, v17, v23
	v_mov_b32_e32 v17, v7
	v_add_f32_e32 v19, v24, v26
	v_fmac_f32_e32 v17, 0x3f5db3d7, v18
	v_fmac_f32_e32 v7, 0xbf5db3d7, v18
	v_add_f32_e32 v18, v0, v24
	v_fma_f32 v0, -0.5, v19, v0
	v_add_f32_e32 v2, v2, v21
	v_sub_f32_e32 v19, v25, v27
	v_mov_b32_e32 v20, v0
	v_add_f32_e32 v21, v25, v27
	v_fmac_f32_e32 v20, 0xbf5db3d7, v19
	v_fmac_f32_e32 v0, 0x3f5db3d7, v19
	v_add_f32_e32 v19, v1, v25
	v_fmac_f32_e32 v1, -0.5, v21
	v_add_f32_e32 v14, v14, v23
	v_sub_f32_e32 v22, v24, v26
	v_mov_b32_e32 v21, v1
	v_add_f32_e32 v18, v18, v26
	v_add_f32_e32 v19, v19, v27
	v_fmac_f32_e32 v21, 0x3f5db3d7, v22
	v_fmac_f32_e32 v1, 0xbf5db3d7, v22
	ds_write2_b64 v87, v[2:3], v[14:15] offset1:156
	ds_write2_b64 v38, v[4:5], v[6:7] offset0:16 offset1:172
	ds_write2_b64 v36, v[18:19], v[12:13] offset0:24 offset1:232
	;; [unrolled: 1-line block ×3, first 2 shown]
	ds_write_b64 v87, v[0:1] offset:10816
	s_and_saveexec_b64 s[4:5], s[2:3]
	s_cbranch_execz .LBB0_21
; %bb.20:
	v_mul_f32_e32 v0, v9, v83
	v_fma_f32 v2, v8, v84, -v0
	v_mul_f32_e32 v0, v11, v81
	v_fma_f32 v4, v10, v82, -v0
	v_add_f32_e32 v0, v2, v4
	v_mul_f32_e32 v6, v9, v84
	v_mul_f32_e32 v7, v11, v82
	v_fma_f32 v1, -0.5, v0, v33
	v_fmac_f32_e32 v6, v8, v83
	v_fmac_f32_e32 v7, v10, v81
	v_sub_f32_e32 v0, v6, v7
	v_mov_b32_e32 v3, v1
	v_fmac_f32_e32 v3, 0xbf5db3d7, v0
	v_fmac_f32_e32 v1, 0x3f5db3d7, v0
	v_add_f32_e32 v0, v33, v2
	v_add_f32_e32 v5, v0, v4
	;; [unrolled: 1-line block ×3, first 2 shown]
	v_fma_f32 v0, -0.5, v0, v32
	v_sub_f32_e32 v4, v2, v4
	v_mov_b32_e32 v2, v0
	v_fmac_f32_e32 v2, 0x3f5db3d7, v4
	v_fmac_f32_e32 v0, 0xbf5db3d7, v4
	v_add_f32_e32 v4, v32, v6
	v_add_f32_e32 v4, v4, v7
	ds_write_b64 v87, v[4:5] offset:3744
	ds_write_b64 v87, v[0:1] offset:7904
	;; [unrolled: 1-line block ×3, first 2 shown]
.LBB0_21:
	s_or_b64 exec, exec, s[4:5]
	s_waitcnt lgkmcnt(0)
	s_barrier
	s_and_b64 exec, exec, s[0:1]
	s_cbranch_execz .LBB0_23
; %bb.22:
	global_load_dwordx2 v[8:9], v85, s[14:15]
	global_load_dwordx2 v[10:11], v85, s[14:15] offset:960
	global_load_dwordx2 v[12:13], v85, s[14:15] offset:1920
	;; [unrolled: 1-line block ×4, first 2 shown]
	v_mov_b32_e32 v4, s15
	v_add_co_u32_e32 v26, vcc, s14, v85
	s_movk_i32 s5, 0x1000
	v_addc_co_u32_e32 v27, vcc, 0, v4, vcc
	v_add_co_u32_e32 v24, vcc, s5, v26
	v_addc_co_u32_e32 v25, vcc, 0, v27, vcc
	global_load_dwordx2 v[28:29], v[24:25], off offset:704
	ds_read_b64 v[18:19], v87
	v_mad_u64_u32 v[16:17], s[0:1], s10, v56, 0
	v_mad_u64_u32 v[20:21], s[2:3], s8, v86, 0
	s_mul_i32 s3, s9, 0x3c0
	s_mul_hi_u32 s4, s8, 0x3c0
	s_add_i32 s3, s4, s3
	s_waitcnt lgkmcnt(0)
	v_mad_u64_u32 v[30:31], s[4:5], s11, v56, v[17:18]
	s_movk_i32 s6, 0x2000
	v_add_co_u32_e32 v26, vcc, s6, v26
	v_add_u32_e32 v5, 0x800, v85
	v_addc_co_u32_e32 v27, vcc, 0, v27, vcc
	v_mov_b32_e32 v17, v30
	ds_read2_b64 v[0:3], v85 offset0:120 offset1:240
	ds_read2_b64 v[4:7], v5 offset0:104 offset1:224
	v_lshlrev_b64 v[16:17], 3, v[16:17]
	v_mov_b32_e32 v38, s13
	v_add_co_u32_e32 v16, vcc, s12, v16
	v_addc_co_u32_e32 v17, vcc, v38, v17, vcc
	s_mul_i32 s2, s8, 0x3c0
	v_mov_b32_e32 v39, s3
	s_mov_b32 s0, 0x15015015
	s_mov_b32 s1, 0x3f450150
	s_waitcnt vmcnt(5)
	v_mul_f32_e32 v38, v19, v9
	v_mul_f32_e32 v9, v18, v9
	s_waitcnt vmcnt(3) lgkmcnt(1)
	v_mul_f32_e32 v40, v3, v13
	v_mul_f32_e32 v13, v2, v13
	s_waitcnt vmcnt(1)
	v_mad_u64_u32 v[31:32], s[4:5], s9, v86, v[21:22]
	global_load_dwordx2 v[32:33], v[26:27], off offset:448
	global_load_dwordx2 v[34:35], v[26:27], off offset:1408
	;; [unrolled: 1-line block ×3, first 2 shown]
	v_fmac_f32_e32 v38, v18, v8
	v_mov_b32_e32 v21, v31
	global_load_dwordx2 v[30:31], v[24:25], off offset:1664
	v_lshlrev_b64 v[20:21], 3, v[20:21]
	v_fma_f32 v8, v8, v19, -v9
	v_add_co_u32_e32 v16, vcc, v16, v20
	v_addc_co_u32_e32 v17, vcc, v17, v21, vcc
	v_add_co_u32_e32 v20, vcc, s2, v16
	v_addc_co_u32_e32 v21, vcc, v17, v39, vcc
	v_mul_f32_e32 v39, v1, v11
	v_mul_f32_e32 v11, v0, v11
	v_fmac_f32_e32 v39, v0, v10
	v_fma_f32 v10, v10, v1, -v11
	v_fmac_f32_e32 v40, v2, v12
	v_fma_f32 v18, v12, v3, -v13
	v_cvt_f64_f32_e32 v[0:1], v38
	v_cvt_f64_f32_e32 v[2:3], v8
	v_cvt_f64_f32_e32 v[8:9], v39
	global_load_dwordx2 v[38:39], v[24:25], off offset:2624
	v_cvt_f64_f32_e32 v[10:11], v10
	v_mul_f64 v[0:1], v[0:1], s[0:1]
	v_mul_f64 v[2:3], v[2:3], s[0:1]
	;; [unrolled: 1-line block ×4, first 2 shown]
	v_cvt_f64_f32_e32 v[12:13], v40
	v_cvt_f64_f32_e32 v[18:19], v18
	s_waitcnt lgkmcnt(0)
	v_mul_f32_e32 v41, v5, v15
	v_mul_f32_e32 v15, v4, v15
	v_cvt_f32_f64_e32 v0, v[0:1]
	v_cvt_f32_f64_e32 v1, v[2:3]
	;; [unrolled: 1-line block ×4, first 2 shown]
	global_store_dwordx2 v[16:17], v[0:1], off
	global_store_dwordx2 v[20:21], v[2:3], off
	global_load_dwordx2 v[10:11], v[24:25], off offset:3584
	v_fma_f32 v0, v14, v5, -v15
	v_mul_f64 v[12:13], v[12:13], s[0:1]
	v_mul_f64 v[18:19], v[18:19], s[0:1]
	v_cvt_f64_f32_e32 v[0:1], v0
	v_fmac_f32_e32 v41, v4, v14
	v_cvt_f64_f32_e32 v[8:9], v41
	v_mov_b32_e32 v14, s3
	v_mul_f64 v[0:1], v[0:1], s[0:1]
	v_cvt_f32_f64_e32 v4, v[12:13]
	v_cvt_f32_f64_e32 v5, v[18:19]
	v_mul_f64 v[2:3], v[8:9], s[0:1]
	v_mov_b32_e32 v9, s3
	v_add_co_u32_e32 v8, vcc, s2, v20
	v_addc_co_u32_e32 v9, vcc, v21, v9, vcc
	global_store_dwordx2 v[8:9], v[4:5], off
	v_cvt_f32_f64_e32 v5, v[0:1]
	v_mul_f32_e32 v0, v7, v23
	v_fmac_f32_e32 v0, v6, v22
	v_cvt_f64_f32_e32 v[12:13], v0
	v_mul_f32_e32 v0, v6, v23
	v_fma_f32 v0, v22, v7, -v0
	v_cvt_f64_f32_e32 v[6:7], v0
	v_add_u32_e32 v0, 0x1000, v85
	v_cvt_f32_f64_e32 v4, v[2:3]
	ds_read2_b64 v[0:3], v0 offset0:88 offset1:208
	v_add_co_u32_e32 v8, vcc, s2, v8
	v_addc_co_u32_e32 v9, vcc, v9, v14, vcc
	global_store_dwordx2 v[8:9], v[4:5], off
	v_mul_f64 v[4:5], v[12:13], s[0:1]
	s_waitcnt vmcnt(10) lgkmcnt(0)
	v_mul_f32_e32 v12, v1, v29
	v_mul_f64 v[6:7], v[6:7], s[0:1]
	v_fmac_f32_e32 v12, v0, v28
	v_mul_f32_e32 v0, v0, v29
	v_fma_f32 v0, v28, v1, -v0
	v_cvt_f64_f32_e32 v[0:1], v0
	v_cvt_f64_f32_e32 v[12:13], v12
	v_cvt_f32_f64_e32 v4, v[4:5]
	v_add_co_u32_e32 v8, vcc, s2, v8
	v_mul_f64 v[0:1], v[0:1], s[0:1]
	v_cvt_f32_f64_e32 v5, v[6:7]
	v_mul_f64 v[6:7], v[12:13], s[0:1]
	v_mov_b32_e32 v12, s3
	v_addc_co_u32_e32 v9, vcc, v9, v12, vcc
	global_store_dwordx2 v[8:9], v[4:5], off
	v_add_co_u32_e32 v8, vcc, s2, v8
	v_cvt_f32_f64_e32 v5, v[0:1]
	s_waitcnt vmcnt(7)
	v_mul_f32_e32 v0, v3, v31
	v_fmac_f32_e32 v0, v2, v30
	v_cvt_f32_f64_e32 v4, v[6:7]
	v_cvt_f64_f32_e32 v[6:7], v0
	v_mul_f32_e32 v0, v2, v31
	v_fma_f32 v0, v30, v3, -v0
	v_cvt_f64_f32_e32 v[12:13], v0
	v_add_u32_e32 v0, 0x1800, v85
	ds_read2_b64 v[0:3], v0 offset0:72 offset1:192
	v_addc_co_u32_e32 v9, vcc, v9, v14, vcc
	global_store_dwordx2 v[8:9], v[4:5], off
	v_mul_f64 v[4:5], v[6:7], s[0:1]
	v_mul_f64 v[6:7], v[12:13], s[0:1]
	s_waitcnt vmcnt(7) lgkmcnt(0)
	v_mul_f32_e32 v12, v1, v39
	v_fmac_f32_e32 v12, v0, v38
	v_mul_f32_e32 v0, v0, v39
	v_fma_f32 v0, v38, v1, -v0
	v_cvt_f64_f32_e32 v[0:1], v0
	v_cvt_f64_f32_e32 v[12:13], v12
	v_cvt_f32_f64_e32 v4, v[4:5]
	v_cvt_f32_f64_e32 v5, v[6:7]
	v_mul_f64 v[0:1], v[0:1], s[0:1]
	v_mul_f64 v[6:7], v[12:13], s[0:1]
	v_mov_b32_e32 v12, s3
	v_add_co_u32_e32 v8, vcc, s2, v8
	v_addc_co_u32_e32 v9, vcc, v9, v12, vcc
	global_store_dwordx2 v[8:9], v[4:5], off
	v_cvt_f32_f64_e32 v5, v[0:1]
	s_waitcnt vmcnt(5)
	v_mul_f32_e32 v0, v3, v11
	v_fmac_f32_e32 v0, v2, v10
	v_cvt_f32_f64_e32 v4, v[6:7]
	v_cvt_f64_f32_e32 v[6:7], v0
	v_mul_f32_e32 v0, v2, v11
	v_fma_f32 v0, v10, v3, -v0
	v_cvt_f64_f32_e32 v[10:11], v0
	v_add_u32_e32 v0, 0x2000, v85
	ds_read2_b64 v[0:3], v0 offset0:56 offset1:176
	v_add_co_u32_e32 v8, vcc, s2, v8
	v_addc_co_u32_e32 v9, vcc, v9, v12, vcc
	global_store_dwordx2 v[8:9], v[4:5], off
	v_mul_f64 v[4:5], v[6:7], s[0:1]
	v_mul_f64 v[6:7], v[10:11], s[0:1]
	s_waitcnt lgkmcnt(0)
	v_mul_f32_e32 v10, v1, v33
	v_fmac_f32_e32 v10, v0, v32
	v_mul_f32_e32 v0, v0, v33
	v_fma_f32 v0, v32, v1, -v0
	v_cvt_f64_f32_e32 v[0:1], v0
	v_cvt_f64_f32_e32 v[10:11], v10
	v_cvt_f32_f64_e32 v4, v[4:5]
	v_cvt_f32_f64_e32 v5, v[6:7]
	v_mul_f64 v[0:1], v[0:1], s[0:1]
	v_mul_f64 v[6:7], v[10:11], s[0:1]
	v_mov_b32_e32 v10, s3
	v_add_co_u32_e32 v8, vcc, s2, v8
	v_addc_co_u32_e32 v9, vcc, v9, v10, vcc
	global_store_dwordx2 v[8:9], v[4:5], off
	v_cvt_f32_f64_e32 v5, v[0:1]
	v_mul_f32_e32 v0, v3, v35
	v_fmac_f32_e32 v0, v2, v34
	v_cvt_f32_f64_e32 v4, v[6:7]
	v_cvt_f64_f32_e32 v[6:7], v0
	v_mul_f32_e32 v0, v2, v35
	v_fma_f32 v0, v34, v3, -v0
	v_cvt_f64_f32_e32 v[10:11], v0
	v_add_u32_e32 v0, 0x2800, v85
	ds_read2_b64 v[0:3], v0 offset0:40 offset1:160
	v_add_co_u32_e32 v8, vcc, s2, v8
	v_addc_co_u32_e32 v9, vcc, v9, v12, vcc
	global_store_dwordx2 v[8:9], v[4:5], off
	v_mul_f64 v[4:5], v[6:7], s[0:1]
	v_mul_f64 v[6:7], v[10:11], s[0:1]
	s_waitcnt lgkmcnt(0)
	v_mul_f32_e32 v10, v1, v37
	v_fmac_f32_e32 v10, v0, v36
	v_mul_f32_e32 v0, v0, v37
	v_fma_f32 v0, v36, v1, -v0
	v_cvt_f64_f32_e32 v[10:11], v10
	v_cvt_f64_f32_e32 v[0:1], v0
	v_cvt_f32_f64_e32 v4, v[4:5]
	v_cvt_f32_f64_e32 v5, v[6:7]
	v_mul_f64 v[6:7], v[10:11], s[0:1]
	v_mul_f64 v[0:1], v[0:1], s[0:1]
	v_mov_b32_e32 v10, s3
	v_add_co_u32_e32 v8, vcc, s2, v8
	v_addc_co_u32_e32 v9, vcc, v9, v10, vcc
	global_store_dwordx2 v[8:9], v[4:5], off
	v_cvt_f32_f64_e32 v4, v[6:7]
	v_cvt_f32_f64_e32 v5, v[0:1]
	v_mov_b32_e32 v1, s3
	v_add_co_u32_e32 v0, vcc, s2, v8
	v_addc_co_u32_e32 v1, vcc, v9, v1, vcc
	global_store_dwordx2 v[0:1], v[4:5], off
	global_load_dwordx2 v[4:5], v[26:27], off offset:3328
	v_add_co_u32_e32 v0, vcc, s2, v0
	s_waitcnt vmcnt(0)
	v_mul_f32_e32 v6, v3, v5
	v_fmac_f32_e32 v6, v2, v4
	v_mul_f32_e32 v2, v2, v5
	v_fma_f32 v2, v4, v3, -v2
	v_cvt_f64_f32_e32 v[6:7], v6
	v_cvt_f64_f32_e32 v[2:3], v2
	v_mul_f64 v[4:5], v[6:7], s[0:1]
	v_mul_f64 v[2:3], v[2:3], s[0:1]
	v_cvt_f32_f64_e32 v4, v[4:5]
	v_cvt_f32_f64_e32 v5, v[2:3]
	v_mov_b32_e32 v2, s3
	v_addc_co_u32_e32 v1, vcc, v1, v2, vcc
	global_store_dwordx2 v[0:1], v[4:5], off
.LBB0_23:
	s_endpgm
	.section	.rodata,"a",@progbits
	.p2align	6, 0x0
	.amdhsa_kernel bluestein_single_fwd_len1560_dim1_sp_op_CI_CI
		.amdhsa_group_segment_fixed_size 12480
		.amdhsa_private_segment_fixed_size 0
		.amdhsa_kernarg_size 104
		.amdhsa_user_sgpr_count 6
		.amdhsa_user_sgpr_private_segment_buffer 1
		.amdhsa_user_sgpr_dispatch_ptr 0
		.amdhsa_user_sgpr_queue_ptr 0
		.amdhsa_user_sgpr_kernarg_segment_ptr 1
		.amdhsa_user_sgpr_dispatch_id 0
		.amdhsa_user_sgpr_flat_scratch_init 0
		.amdhsa_user_sgpr_private_segment_size 0
		.amdhsa_uses_dynamic_stack 0
		.amdhsa_system_sgpr_private_segment_wavefront_offset 0
		.amdhsa_system_sgpr_workgroup_id_x 1
		.amdhsa_system_sgpr_workgroup_id_y 0
		.amdhsa_system_sgpr_workgroup_id_z 0
		.amdhsa_system_sgpr_workgroup_info 0
		.amdhsa_system_vgpr_workitem_id 0
		.amdhsa_next_free_vgpr 205
		.amdhsa_next_free_sgpr 20
		.amdhsa_reserve_vcc 1
		.amdhsa_reserve_flat_scratch 0
		.amdhsa_float_round_mode_32 0
		.amdhsa_float_round_mode_16_64 0
		.amdhsa_float_denorm_mode_32 3
		.amdhsa_float_denorm_mode_16_64 3
		.amdhsa_dx10_clamp 1
		.amdhsa_ieee_mode 1
		.amdhsa_fp16_overflow 0
		.amdhsa_exception_fp_ieee_invalid_op 0
		.amdhsa_exception_fp_denorm_src 0
		.amdhsa_exception_fp_ieee_div_zero 0
		.amdhsa_exception_fp_ieee_overflow 0
		.amdhsa_exception_fp_ieee_underflow 0
		.amdhsa_exception_fp_ieee_inexact 0
		.amdhsa_exception_int_div_zero 0
	.end_amdhsa_kernel
	.text
.Lfunc_end0:
	.size	bluestein_single_fwd_len1560_dim1_sp_op_CI_CI, .Lfunc_end0-bluestein_single_fwd_len1560_dim1_sp_op_CI_CI
                                        ; -- End function
	.section	.AMDGPU.csdata,"",@progbits
; Kernel info:
; codeLenInByte = 15088
; NumSgprs: 24
; NumVgprs: 205
; ScratchSize: 0
; MemoryBound: 0
; FloatMode: 240
; IeeeMode: 1
; LDSByteSize: 12480 bytes/workgroup (compile time only)
; SGPRBlocks: 2
; VGPRBlocks: 51
; NumSGPRsForWavesPerEU: 24
; NumVGPRsForWavesPerEU: 205
; Occupancy: 1
; WaveLimiterHint : 1
; COMPUTE_PGM_RSRC2:SCRATCH_EN: 0
; COMPUTE_PGM_RSRC2:USER_SGPR: 6
; COMPUTE_PGM_RSRC2:TRAP_HANDLER: 0
; COMPUTE_PGM_RSRC2:TGID_X_EN: 1
; COMPUTE_PGM_RSRC2:TGID_Y_EN: 0
; COMPUTE_PGM_RSRC2:TGID_Z_EN: 0
; COMPUTE_PGM_RSRC2:TIDIG_COMP_CNT: 0
	.type	__hip_cuid_d0e2daa8190f159b,@object ; @__hip_cuid_d0e2daa8190f159b
	.section	.bss,"aw",@nobits
	.globl	__hip_cuid_d0e2daa8190f159b
__hip_cuid_d0e2daa8190f159b:
	.byte	0                               ; 0x0
	.size	__hip_cuid_d0e2daa8190f159b, 1

	.ident	"AMD clang version 19.0.0git (https://github.com/RadeonOpenCompute/llvm-project roc-6.4.0 25133 c7fe45cf4b819c5991fe208aaa96edf142730f1d)"
	.section	".note.GNU-stack","",@progbits
	.addrsig
	.addrsig_sym __hip_cuid_d0e2daa8190f159b
	.amdgpu_metadata
---
amdhsa.kernels:
  - .args:
      - .actual_access:  read_only
        .address_space:  global
        .offset:         0
        .size:           8
        .value_kind:     global_buffer
      - .actual_access:  read_only
        .address_space:  global
        .offset:         8
        .size:           8
        .value_kind:     global_buffer
      - .actual_access:  read_only
        .address_space:  global
        .offset:         16
        .size:           8
        .value_kind:     global_buffer
      - .actual_access:  read_only
        .address_space:  global
        .offset:         24
        .size:           8
        .value_kind:     global_buffer
      - .actual_access:  read_only
        .address_space:  global
        .offset:         32
        .size:           8
        .value_kind:     global_buffer
      - .offset:         40
        .size:           8
        .value_kind:     by_value
      - .address_space:  global
        .offset:         48
        .size:           8
        .value_kind:     global_buffer
      - .address_space:  global
        .offset:         56
        .size:           8
        .value_kind:     global_buffer
      - .address_space:  global
        .offset:         64
        .size:           8
        .value_kind:     global_buffer
      - .address_space:  global
        .offset:         72
        .size:           8
        .value_kind:     global_buffer
      - .offset:         80
        .size:           4
        .value_kind:     by_value
      - .address_space:  global
        .offset:         88
        .size:           8
        .value_kind:     global_buffer
      - .address_space:  global
        .offset:         96
        .size:           8
        .value_kind:     global_buffer
    .group_segment_fixed_size: 12480
    .kernarg_segment_align: 8
    .kernarg_segment_size: 104
    .language:       OpenCL C
    .language_version:
      - 2
      - 0
    .max_flat_workgroup_size: 156
    .name:           bluestein_single_fwd_len1560_dim1_sp_op_CI_CI
    .private_segment_fixed_size: 0
    .sgpr_count:     24
    .sgpr_spill_count: 0
    .symbol:         bluestein_single_fwd_len1560_dim1_sp_op_CI_CI.kd
    .uniform_work_group_size: 1
    .uses_dynamic_stack: false
    .vgpr_count:     205
    .vgpr_spill_count: 0
    .wavefront_size: 64
amdhsa.target:   amdgcn-amd-amdhsa--gfx906
amdhsa.version:
  - 1
  - 2
...

	.end_amdgpu_metadata
